;; amdgpu-corpus repo=zjin-lcf/HeCBench kind=compiled arch=gfx90a opt=O3
	.text
	.amdgcn_target "amdgcn-amd-amdhsa--gfx90a"
	.amdhsa_code_object_version 6
	.protected	_Z20kernelUpdateParticlePfS_PKfS1_iff ; -- Begin function _Z20kernelUpdateParticlePfS_PKfS1_iff
	.globl	_Z20kernelUpdateParticlePfS_PKfS1_iff
	.p2align	8
	.type	_Z20kernelUpdateParticlePfS_PKfS1_iff,@function
_Z20kernelUpdateParticlePfS_PKfS1_iff:  ; @_Z20kernelUpdateParticlePfS_PKfS1_iff
; %bb.0:
	s_load_dword s0, s[4:5], 0x3c
	s_load_dwordx4 s[8:11], s[4:5], 0x20
	s_waitcnt lgkmcnt(0)
	s_and_b32 s0, s0, 0xffff
	s_mul_i32 s6, s6, s0
	v_add_u32_e32 v0, s6, v0
	s_mul_i32 s0, s8, 30
	v_cmp_gt_i32_e32 vcc, s0, v0
	s_and_saveexec_b64 s[0:1], vcc
	s_cbranch_execz .LBB0_2
; %bb.1:
	s_load_dwordx8 s[0:7], s[4:5], 0x0
	v_ashrrev_i32_e32 v1, 31, v0
	v_lshlrev_b64 v[2:3], 2, v[0:1]
	s_waitcnt lgkmcnt(0)
	v_mov_b32_e32 v1, s5
	v_add_co_u32_e32 v4, vcc, s4, v2
	v_addc_co_u32_e32 v5, vcc, v1, v3, vcc
	v_mov_b32_e32 v1, s1
	v_add_co_u32_e32 v6, vcc, s0, v2
	s_mov_b32 s0, 0x88888889
	v_addc_co_u32_e32 v7, vcc, v1, v3, vcc
	v_mul_hi_i32 v1, v0, s0
	v_add_u32_e32 v1, v1, v0
	global_load_dword v4, v[4:5], off
	v_lshrrev_b32_e32 v5, 31, v1
	v_ashrrev_i32_e32 v1, 4, v1
	v_add_u32_e32 v1, v1, v5
	v_mul_lo_u32 v1, v1, 30
	v_sub_u32_e32 v0, v0, v1
	v_ashrrev_i32_e32 v1, 31, v0
	v_lshlrev_b64 v[0:1], 2, v[0:1]
	v_mov_b32_e32 v5, s7
	v_add_co_u32_e32 v0, vcc, s6, v0
	v_addc_co_u32_e32 v1, vcc, v5, v1, vcc
	v_mov_b32_e32 v9, s3
	global_load_dword v5, v[0:1], off
	v_add_co_u32_e32 v0, vcc, s2, v2
	v_addc_co_u32_e32 v1, vcc, v9, v3, vcc
	global_load_dword v8, v[6:7], off
	global_load_dword v9, v[0:1], off
	s_mov_b32 s0, s9
	s_mov_b32 s1, s10
	v_mov_b32_e32 v2, 0x3fc00000
	v_pk_mul_f32 v[2:3], s[0:1], v[2:3] op_sel_hi:[1,0]
	s_waitcnt vmcnt(0)
	v_pk_add_f32 v[4:5], v[4:5], v[8:9] op_sel_hi:[1,0] neg_lo:[0,1] neg_hi:[0,1]
	v_pk_mul_f32 v[2:3], v[2:3], v[4:5]
	v_fma_f32 v2, 0.5, v9, v2
	v_add_f32_e32 v2, v2, v3
	global_store_dword v[0:1], v2, off
	v_add_f32_e32 v0, v8, v2
	global_store_dword v[6:7], v0, off
.LBB0_2:
	s_endpgm
	.section	.rodata,"a",@progbits
	.p2align	6, 0x0
	.amdhsa_kernel _Z20kernelUpdateParticlePfS_PKfS1_iff
		.amdhsa_group_segment_fixed_size 0
		.amdhsa_private_segment_fixed_size 0
		.amdhsa_kernarg_size 304
		.amdhsa_user_sgpr_count 6
		.amdhsa_user_sgpr_private_segment_buffer 1
		.amdhsa_user_sgpr_dispatch_ptr 0
		.amdhsa_user_sgpr_queue_ptr 0
		.amdhsa_user_sgpr_kernarg_segment_ptr 1
		.amdhsa_user_sgpr_dispatch_id 0
		.amdhsa_user_sgpr_flat_scratch_init 0
		.amdhsa_user_sgpr_kernarg_preload_length 0
		.amdhsa_user_sgpr_kernarg_preload_offset 0
		.amdhsa_user_sgpr_private_segment_size 0
		.amdhsa_uses_dynamic_stack 0
		.amdhsa_system_sgpr_private_segment_wavefront_offset 0
		.amdhsa_system_sgpr_workgroup_id_x 1
		.amdhsa_system_sgpr_workgroup_id_y 0
		.amdhsa_system_sgpr_workgroup_id_z 0
		.amdhsa_system_sgpr_workgroup_info 0
		.amdhsa_system_vgpr_workitem_id 0
		.amdhsa_next_free_vgpr 10
		.amdhsa_next_free_sgpr 12
		.amdhsa_accum_offset 12
		.amdhsa_reserve_vcc 1
		.amdhsa_reserve_flat_scratch 0
		.amdhsa_float_round_mode_32 0
		.amdhsa_float_round_mode_16_64 0
		.amdhsa_float_denorm_mode_32 3
		.amdhsa_float_denorm_mode_16_64 3
		.amdhsa_dx10_clamp 1
		.amdhsa_ieee_mode 1
		.amdhsa_fp16_overflow 0
		.amdhsa_tg_split 0
		.amdhsa_exception_fp_ieee_invalid_op 0
		.amdhsa_exception_fp_denorm_src 0
		.amdhsa_exception_fp_ieee_div_zero 0
		.amdhsa_exception_fp_ieee_overflow 0
		.amdhsa_exception_fp_ieee_underflow 0
		.amdhsa_exception_fp_ieee_inexact 0
		.amdhsa_exception_int_div_zero 0
	.end_amdhsa_kernel
	.text
.Lfunc_end0:
	.size	_Z20kernelUpdateParticlePfS_PKfS1_iff, .Lfunc_end0-_Z20kernelUpdateParticlePfS_PKfS1_iff
                                        ; -- End function
	.section	.AMDGPU.csdata,"",@progbits
; Kernel info:
; codeLenInByte = 292
; NumSgprs: 16
; NumVgprs: 10
; NumAgprs: 0
; TotalNumVgprs: 10
; ScratchSize: 0
; MemoryBound: 0
; FloatMode: 240
; IeeeMode: 1
; LDSByteSize: 0 bytes/workgroup (compile time only)
; SGPRBlocks: 1
; VGPRBlocks: 1
; NumSGPRsForWavesPerEU: 16
; NumVGPRsForWavesPerEU: 10
; AccumOffset: 12
; Occupancy: 8
; WaveLimiterHint : 0
; COMPUTE_PGM_RSRC2:SCRATCH_EN: 0
; COMPUTE_PGM_RSRC2:USER_SGPR: 6
; COMPUTE_PGM_RSRC2:TRAP_HANDLER: 0
; COMPUTE_PGM_RSRC2:TGID_X_EN: 1
; COMPUTE_PGM_RSRC2:TGID_Y_EN: 0
; COMPUTE_PGM_RSRC2:TGID_Z_EN: 0
; COMPUTE_PGM_RSRC2:TIDIG_COMP_CNT: 0
; COMPUTE_PGM_RSRC3_GFX90A:ACCUM_OFFSET: 2
; COMPUTE_PGM_RSRC3_GFX90A:TG_SPLIT: 0
	.text
	.protected	_Z17kernelUpdatePBestPKfPfS1_i ; -- Begin function _Z17kernelUpdatePBestPKfPfS1_i
	.globl	_Z17kernelUpdatePBestPKfPfS1_i
	.p2align	8
	.type	_Z17kernelUpdatePBestPKfPfS1_i,@function
_Z17kernelUpdatePBestPKfPfS1_i:         ; @_Z17kernelUpdatePBestPKfPfS1_i
; %bb.0:
	s_load_dword s6, s[4:5], 0x2c
	s_load_dword s7, s[4:5], 0x18
	s_add_u32 s0, s0, s9
	s_addc_u32 s1, s1, 0
	s_waitcnt lgkmcnt(0)
	s_and_b32 s6, s6, 0xffff
	s_mul_i32 s8, s8, s6
	v_add_u32_e32 v0, s8, v0
	v_cmp_gt_i32_e32 vcc, s7, v0
	s_and_saveexec_b64 s[6:7], vcc
	s_cbranch_execz .LBB1_212
; %bb.1:
	s_load_dwordx4 s[8:11], s[4:5], 0x0
	v_mul_lo_u32 v0, v0, 30
	v_ashrrev_i32_e32 v1, 31, v0
	v_lshlrev_b64 v[0:1], 2, v[0:1]
	s_mov_b32 s6, 0x3e800000
	s_waitcnt lgkmcnt(0)
	v_mov_b32_e32 v2, s9
	v_add_co_u32_e32 v60, vcc, s8, v0
	v_addc_co_u32_e32 v61, vcc, v2, v1, vcc
	global_load_dwordx4 v[4:7], v[60:61], off
	v_mov_b32_e32 v2, s11
	v_add_co_u32_e32 v0, vcc, s10, v0
	v_addc_co_u32_e32 v1, vcc, v2, v1, vcc
	global_load_dwordx4 v[8:11], v[0:1], off
	global_load_dwordx4 v[12:15], v[60:61], off offset:16
	global_load_dwordx4 v[16:19], v[0:1], off offset:16
	;; [unrolled: 1-line block ×12, first 2 shown]
	global_load_dwordx2 v[2:3], v[60:61], off offset:112
	s_brev_b32 s7, 18
	s_waitcnt vmcnt(14)
	buffer_store_dword v5, off, s[0:3], 0 offset:4
	buffer_store_dword v4, off, s[0:3], 0
	buffer_store_dword v7, off, s[0:3], 0 offset:12
	buffer_store_dword v6, off, s[0:3], 0 offset:8
	buffer_load_dword v6, off, s[0:3], 0
	s_nop 0
	global_load_dwordx2 v[4:5], v[0:1], off offset:112
	s_waitcnt vmcnt(19)
	buffer_store_dword v9, off, s[0:3], 0 offset:132
	buffer_store_dword v8, off, s[0:3], 0 offset:128
	buffer_store_dword v11, off, s[0:3], 0 offset:140
	buffer_store_dword v10, off, s[0:3], 0 offset:136
	s_waitcnt vmcnt(22)
	buffer_store_dword v13, off, s[0:3], 0 offset:20
	buffer_store_dword v12, off, s[0:3], 0 offset:16
	s_waitcnt vmcnt(23)
	buffer_store_dword v17, off, s[0:3], 0 offset:148
	buffer_store_dword v16, off, s[0:3], 0 offset:144
	buffer_store_dword v15, off, s[0:3], 0 offset:28
	buffer_store_dword v14, off, s[0:3], 0 offset:24
	buffer_store_dword v19, off, s[0:3], 0 offset:156
	buffer_store_dword v18, off, s[0:3], 0 offset:152
	s_waitcnt vmcnt(28)
	buffer_store_dword v21, off, s[0:3], 0 offset:36
	buffer_store_dword v20, off, s[0:3], 0 offset:32
	s_waitcnt vmcnt(29)
	buffer_store_dword v25, off, s[0:3], 0 offset:164
	buffer_store_dword v24, off, s[0:3], 0 offset:160
	;; [unrolled: 10-line block ×7, first 2 shown]
                                        ; implicit-def: $vgpr4
	v_add_f32_e32 v2, -1.0, v6
	v_fma_f32 v2, v2, s6, 1.0
	v_mul_f32_e32 v6, 0x40490e56, v2
	v_and_b32_e32 v7, 0x7fffffff, v6
	v_cmp_nlt_f32_e64 s[16:17], |v6|, s7
                                        ; implicit-def: $vgpr2
	s_and_saveexec_b64 s[6:7], s[16:17]
	s_xor_b64 s[12:13], exec, s[6:7]
	s_cbranch_execz .LBB1_3
; %bb.2:
	v_lshrrev_b32_e32 v2, 23, v7
	v_add_u32_e32 v2, 0xffffff88, v2
	v_not_b32_e32 v4, 63
	v_cmp_lt_u32_e32 vcc, 63, v2
	v_cndmask_b32_e32 v4, 0, v4, vcc
	v_add_u32_e32 v2, v4, v2
	v_not_b32_e32 v4, 31
	v_cmp_lt_u32_e64 s[6:7], 31, v2
	v_cndmask_b32_e64 v8, 0, v4, s[6:7]
	v_add_u32_e32 v2, v8, v2
	v_cmp_lt_u32_e64 s[8:9], 31, v2
	v_cndmask_b32_e64 v4, 0, v4, s[8:9]
	v_add_u32_e32 v2, v4, v2
	v_and_b32_e32 v4, 0x7fffff, v7
	v_or_b32_e32 v20, 0x800000, v4
	s_mov_b32 s10, 0xfe5163ab
	v_mad_u64_u32 v[8:9], s[10:11], v20, s10, 0
	v_mov_b32_e32 v5, 0
	v_mov_b32_e32 v4, v9
	s_mov_b32 s10, 0x3c439041
	v_mad_u64_u32 v[10:11], s[10:11], v20, s10, v[4:5]
	v_mov_b32_e32 v4, v11
	s_mov_b32 s10, 0xdb629599
	v_mad_u64_u32 v[12:13], s[10:11], v20, s10, v[4:5]
	;; [unrolled: 3-line block ×6, first 2 shown]
	v_cndmask_b32_e32 v9, v18, v14, vcc
	v_cndmask_b32_e32 v4, v4, v16, vcc
	;; [unrolled: 1-line block ×3, first 2 shown]
	v_cndmask_b32_e64 v11, v4, v9, s[6:7]
	v_cndmask_b32_e64 v4, v5, v4, s[6:7]
	v_cndmask_b32_e32 v5, v16, v12, vcc
	v_cndmask_b32_e64 v9, v9, v5, s[6:7]
	v_cndmask_b32_e64 v4, v4, v11, s[8:9]
	v_cndmask_b32_e64 v11, v11, v9, s[8:9]
	v_sub_u32_e32 v13, 32, v2
	v_alignbit_b32 v15, v4, v11, v13
	v_cmp_eq_u32_e64 s[10:11], 0, v2
	v_cndmask_b32_e64 v2, v15, v4, s[10:11]
	v_cndmask_b32_e32 v4, v14, v10, vcc
	v_cndmask_b32_e64 v5, v5, v4, s[6:7]
	v_cndmask_b32_e64 v9, v9, v5, s[8:9]
	v_alignbit_b32 v10, v11, v9, v13
	v_cndmask_b32_e32 v8, v12, v8, vcc
	v_cndmask_b32_e64 v10, v10, v11, s[10:11]
	v_bfe_u32 v15, v2, 29, 1
	v_cndmask_b32_e64 v4, v4, v8, s[6:7]
	v_alignbit_b32 v11, v2, v10, 30
	v_sub_u32_e32 v16, 0, v15
	v_cndmask_b32_e64 v4, v5, v4, s[8:9]
	v_xor_b32_e32 v17, v11, v16
	v_alignbit_b32 v5, v9, v4, v13
	v_cndmask_b32_e64 v5, v5, v9, s[10:11]
	v_ffbh_u32_e32 v9, v17
	v_add_u32_e32 v9, 1, v9
	v_cmp_ne_u32_e32 vcc, v11, v16
	v_alignbit_b32 v8, v10, v5, 30
	v_cndmask_b32_e32 v9, 33, v9, vcc
	v_alignbit_b32 v4, v5, v4, 30
	v_xor_b32_e32 v8, v8, v16
	v_sub_u32_e32 v10, 32, v9
	v_xor_b32_e32 v4, v4, v16
	v_alignbit_b32 v11, v17, v8, v10
	v_alignbit_b32 v4, v8, v4, v10
	;; [unrolled: 1-line block ×3, first 2 shown]
	v_ffbh_u32_e32 v8, v5
	v_min_u32_e32 v8, 32, v8
	v_lshrrev_b32_e32 v14, 29, v2
	v_sub_u32_e32 v10, 31, v8
	v_alignbit_b32 v4, v5, v4, v10
	v_lshlrev_b32_e32 v5, 31, v14
	v_or_b32_e32 v10, 0x33800000, v5
	v_add_lshl_u32 v8, v8, v9, 23
	v_lshrrev_b32_e32 v4, 9, v4
	v_sub_u32_e32 v8, v10, v8
	v_or_b32_e32 v4, v8, v4
	v_alignbit_b32 v8, v9, v11, 9
	v_or_b32_e32 v5, v8, v5
	v_xor_b32_e32 v5, 1.0, v5
	s_mov_b32 s6, 0x3fc90fda
	v_mul_f32_e32 v8, 0x3fc90fda, v5
	v_fma_f32 v9, v5, s6, -v8
	v_fmac_f32_e32 v9, 0x33a22168, v5
	v_fmac_f32_e32 v9, 0x3fc90fda, v4
	v_lshrrev_b32_e32 v2, 30, v2
	v_add_f32_e32 v4, v8, v9
	v_add_u32_e32 v2, v15, v2
.LBB1_3:
	s_or_saveexec_b64 s[6:7], s[12:13]
	s_load_dwordx2 s[14:15], s[4:5], 0x10
	s_xor_b64 exec, exec, s[6:7]
; %bb.4:
	s_mov_b32 s4, 0x3f22f983
	v_mul_f32_e64 v2, |v6|, s4
	v_rndne_f32_e32 v5, v2
	s_mov_b32 s4, 0xbfc90fda
	v_cvt_i32_f32_e32 v2, v5
	v_fma_f32 v4, v5, s4, |v6|
	v_fmac_f32_e32 v4, 0xb3a22168, v5
	v_fmac_f32_e32 v4, 0xa7c234c4, v5
; %bb.5:
	s_or_b64 exec, exec, s[6:7]
	v_mul_f32_e32 v5, v4, v4
	v_mov_b32_e32 v9, 0x3c0881c4
	v_fmac_f32_e32 v9, 0xb94c1982, v5
	v_mov_b32_e32 v8, 0xbe2aaa9d
	v_fma_f32 v9, v5, v9, v8
	v_mul_f32_e32 v9, v5, v9
	v_mov_b32_e32 v10, 0xbab64f3b
	v_fmac_f32_e32 v4, v4, v9
	v_fmac_f32_e32 v10, 0x37d75334, v5
	v_mov_b32_e32 v9, 0x3d2aabf7
	v_fma_f32 v11, v5, v10, v9
	v_mov_b32_e32 v10, 0xbf000004
	v_fma_f32 v11, v5, v11, v10
	v_fma_f32 v5, v5, v11, 1.0
	v_and_b32_e32 v11, 1, v2
	v_lshlrev_b32_e32 v2, 30, v2
	v_cmp_eq_u32_e32 vcc, 0, v11
	v_and_b32_e32 v2, 0x80000000, v2
	v_cndmask_b32_e32 v4, v5, v4, vcc
	v_xor_b32_e32 v2, v7, v2
	v_add_f32_e32 v3, -1.0, v3
	s_mov_b32 s18, 0x3e800000
	v_xor_b32_e32 v2, v2, v4
	s_movk_i32 s20, 0x1f8
	v_fma_f32 v3, v3, s18, 1.0
	v_xor_b32_e32 v4, v2, v6
	v_mov_b32_e32 v11, 0x7fc00000
	v_cmp_class_f32_e64 vcc, v6, s20
	v_cndmask_b32_e32 v2, v11, v4, vcc
	v_cndmask_b32_e64 v4, v11, |v4|, vcc
	v_add_f32_e32 v3, -1.0, v3
	v_frexp_mant_f32_e32 v13, v4
	v_cvt_f64_f32_e32 v[14:15], v4
	v_frexp_mant_f32_e64 v12, |v3|
	s_mov_b32 s21, 0x3f2aaaab
	v_frexp_exp_i32_f64_e32 v5, v[14:15]
	v_cvt_f64_f32_e64 v[14:15], |v3|
	v_cmp_gt_f32_e64 s[4:5], s21, v13
	v_cmp_gt_f32_e64 s[6:7], s21, v12
	v_frexp_exp_i32_f64_e32 v30, v[14:15]
	v_cndmask_b32_e64 v15, 1.0, 2.0, s[4:5]
	v_cndmask_b32_e64 v14, 1.0, 2.0, s[6:7]
	v_pk_mul_f32 v[12:13], v[12:13], v[14:15]
	v_pk_add_f32 v[14:15], v[12:13], 1.0 op_sel_hi:[1,0]
	v_rcp_f32_e32 v17, v15
	v_rcp_f32_e32 v16, v14
	v_pk_add_f32 v[18:19], -1.0, v[14:15] op_sel_hi:[0,1]
	v_pk_add_f32 v[18:19], v[12:13], v[18:19] neg_lo:[0,1] neg_hi:[0,1]
	v_pk_add_f32 v[12:13], -1.0, v[12:13] op_sel_hi:[0,1]
	v_pk_mul_f32 v[20:21], v[12:13], v[16:17]
	v_pk_mul_f32 v[22:23], v[14:15], v[20:21]
	v_pk_fma_f32 v[14:15], v[20:21], v[14:15], v[22:23] neg_lo:[0,0,1] neg_hi:[0,0,1]
	v_pk_fma_f32 v[14:15], v[20:21], v[18:19], v[14:15]
	v_pk_add_f32 v[18:19], v[22:23], v[14:15]
	v_pk_add_f32 v[24:25], v[12:13], v[18:19] neg_lo:[0,1] neg_hi:[0,1]
	v_mov_b32_e32 v26, v19
	v_mov_b32_e32 v27, v13
	;; [unrolled: 1-line block ×4, first 2 shown]
	v_pk_add_f32 v[26:27], v[26:27], v[28:29] neg_lo:[0,1] neg_hi:[0,1]
	v_mov_b32_e32 v29, v19
	v_mov_b32_e32 v19, v12
	;; [unrolled: 1-line block ×4, first 2 shown]
	v_pk_add_f32 v[12:13], v[18:19], v[22:23] neg_lo:[0,1] neg_hi:[0,1]
	v_mov_b32_e32 v15, v18
	v_pk_add_f32 v[26:27], v[26:27], v[28:29] neg_lo:[0,1] neg_hi:[0,1]
	v_pk_add_f32 v[12:13], v[12:13], v[14:15] neg_lo:[0,1] neg_hi:[0,1]
	v_mov_b32_e32 v14, v12
	v_mov_b32_e32 v15, v26
	v_mov_b32_e32 v26, v13
	v_pk_add_f32 v[12:13], v[14:15], v[26:27]
	v_pk_add_f32 v[12:13], v[24:25], v[12:13]
	v_pk_mul_f32 v[12:13], v[16:17], v[12:13]
	v_pk_add_f32 v[14:15], v[20:21], v[12:13]
	v_pk_add_f32 v[16:17], v[14:15], v[20:21] neg_lo:[0,1] neg_hi:[0,1]
	v_pk_add_f32 v[12:13], v[12:13], v[16:17] neg_lo:[0,1] neg_hi:[0,1]
	v_pk_mul_f32 v[16:17], v[14:15], v[14:15]
	v_pk_fma_f32 v[18:19], v[14:15], v[14:15], v[16:17] neg_lo:[0,0,1] neg_hi:[0,0,1]
	v_pk_add_f32 v[20:21], v[12:13], v[12:13]
	v_pk_fma_f32 v[18:19], v[14:15], v[20:21], v[18:19]
	v_pk_add_f32 v[20:21], v[16:17], v[18:19]
	v_subbrev_co_u32_e64 v5, s[4:5], 0, v5, s[4:5]
	v_pk_add_f32 v[16:17], v[20:21], v[16:17] neg_lo:[0,1] neg_hi:[0,1]
	v_cvt_f32_i32_e32 v5, v5
	v_pk_add_f32 v[16:17], v[18:19], v[16:17] neg_lo:[0,1] neg_hi:[0,1]
	v_pk_mul_f32 v[18:19], v[14:15], v[20:21]
	v_pk_fma_f32 v[22:23], v[20:21], v[14:15], v[18:19] neg_lo:[0,0,1] neg_hi:[0,0,1]
	v_pk_fma_f32 v[22:23], v[20:21], v[12:13], v[22:23]
	v_pk_fma_f32 v[22:23], v[16:17], v[14:15], v[22:23]
	s_mov_b32 s22, 0x3f317218
	v_mul_f32_e32 v26, 0x3f317218, v5
	v_pk_add_f32 v[24:25], v[18:19], v[22:23]
	v_fma_f32 v28, v5, s22, -v26
	v_fmac_f32_e32 v28, 0xb102e308, v5
	v_subbrev_co_u32_e64 v5, s[4:5], 0, v30, s[6:7]
	v_pk_add_f32 v[18:19], v[24:25], v[18:19] neg_lo:[0,1] neg_hi:[0,1]
	v_ldexp_f32 v29, v15, 1
	v_ldexp_f32 v33, v14, 1
	v_pk_add_f32 v[14:15], v[22:23], v[18:19] neg_lo:[0,1] neg_hi:[0,1]
	v_mov_b32_e32 v18, 0x3e91f4c4
	s_mov_b32 s4, 0x3e76c4e1
	v_pk_fma_f32 v[18:19], v[20:21], s[4:5], v[18:19] op_sel_hi:[1,0,0]
	s_mov_b32 s4, 0x3ecccdef
	v_pk_fma_f32 v[18:19], v[20:21], v[18:19], s[4:5] op_sel_hi:[1,1,0]
	v_pk_mul_f32 v[22:23], v[20:21], v[18:19]
	v_cvt_f32_i32_e32 v5, v5
	v_pk_fma_f32 v[20:21], v[20:21], v[18:19], v[22:23] neg_lo:[0,0,1] neg_hi:[0,0,1]
	v_pk_fma_f32 v[16:17], v[16:17], v[18:19], v[20:21]
	v_pk_add_f32 v[18:19], v[22:23], v[16:17]
	v_pk_add_f32 v[20:21], v[18:19], v[22:23] neg_lo:[0,1] neg_hi:[0,1]
	v_mul_f32_e32 v30, 0x3f317218, v5
	v_mov_b32_e32 v22, v17
	s_mov_b32 s5, 0x3f2aaaaa
	v_mov_b32_e32 v34, v21
	v_fma_f32 v32, v5, s22, -v30
	v_pk_add_f32 v[22:23], v[22:23], v[34:35] neg_lo:[0,1] neg_hi:[0,1]
	v_pk_add_f32 v[34:35], v[18:19], s[4:5]
	v_fmac_f32_e32 v32, 0xb102e308, v5
	v_mov_b32_e32 v23, v35
	v_mov_b32_e32 v35, 0x3f2aaaaa
	;; [unrolled: 1-line block ×4, first 2 shown]
	s_mov_b32 s6, 0x31739010
	v_pk_add_f32 v[16:17], v[16:17], v[20:21] neg_lo:[0,1] neg_hi:[0,1]
	v_pk_add_f32 v[20:21], v[34:35], v[4:5]
	s_mov_b32 s7, 0xbf2aaaaa
	v_mov_b32_e32 v17, v21
	v_pk_add_f32 v[22:23], v[22:23], s[6:7]
	v_pk_add_f32 v[16:17], v[16:17], s[6:7]
	v_mov_b32_e32 v20, v17
	v_mov_b32_e32 v21, v23
	v_pk_add_f32 v[20:21], v[18:19], v[20:21] neg_lo:[0,1] neg_hi:[0,1]
	v_mov_b32_e32 v17, v22
	s_mov_b32 s4, s5
	v_pk_add_f32 v[16:17], v[16:17], v[20:21]
	v_pk_add_f32 v[18:19], v[18:19], s[4:5] op_sel_hi:[1,0]
	v_pk_add_f32 v[20:21], v[18:19], v[16:17]
	v_pk_mul_f32 v[22:23], v[24:25], v[20:21]
	v_pk_add_f32 v[18:19], v[18:19], v[20:21] neg_lo:[0,1] neg_hi:[0,1]
	v_pk_add_f32 v[16:17], v[16:17], v[18:19]
	v_pk_fma_f32 v[18:19], v[24:25], v[20:21], v[22:23] neg_lo:[0,0,1] neg_hi:[0,0,1]
	v_pk_fma_f32 v[16:17], v[24:25], v[16:17], v[18:19]
	v_pk_fma_f32 v[14:15], v[14:15], v[20:21], v[16:17]
	v_pk_add_f32 v[16:17], v[22:23], v[14:15]
	v_pk_add_f32 v[20:21], v[16:17], v[22:23] neg_lo:[0,1] neg_hi:[0,1]
	v_ldexp_f32 v13, v13, 1
	v_ldexp_f32 v12, v12, 1
	v_mov_b32_e32 v27, v17
	v_pk_add_f32 v[14:15], v[14:15], v[20:21] neg_lo:[0,1] neg_hi:[0,1]
	v_mov_b32_e32 v31, v16
	v_pk_add_f32 v[18:19], v[26:27], v[28:29]
	v_pk_add_f32 v[12:13], v[12:13], v[14:15]
	v_pk_add_f32 v[14:15], v[30:31], v[32:33]
	v_mov_b32_e32 v20, v15
	v_mov_b32_e32 v21, v19
	;; [unrolled: 1-line block ×4, first 2 shown]
	v_pk_add_f32 v[22:23], v[20:21], v[22:23] neg_lo:[0,1] neg_hi:[0,1]
	v_pk_add_f32 v[16:17], v[16:17], v[22:23] neg_lo:[0,1] neg_hi:[0,1]
	v_pk_add_f32 v[12:13], v[12:13], v[16:17]
	v_mov_b32_e32 v27, v13
	v_pk_add_f32 v[16:17], v[18:19], v[26:27] neg_lo:[0,1] neg_hi:[0,1]
	v_mov_b32_e32 v31, v12
	v_pk_add_f32 v[22:23], v[18:19], v[26:27]
	v_mov_b32_e32 v5, v18
	v_pk_add_f32 v[16:17], v[28:29], v[16:17] neg_lo:[0,1] neg_hi:[0,1]
	v_pk_add_f32 v[28:29], v[14:15], v[30:31]
	v_pk_add_f32 v[24:25], v[4:5], v[22:23]
	v_mov_b32_e32 v22, v29
	v_pk_add_f32 v[26:27], v[14:15], v[30:31] neg_lo:[0,1] neg_hi:[0,1]
	v_pk_add_f32 v[20:21], v[22:23], v[20:21] neg_lo:[0,1] neg_hi:[0,1]
	v_mov_b32_e32 v5, v14
	v_pk_add_f32 v[12:13], v[12:13], v[20:21] neg_lo:[0,1] neg_hi:[0,1]
	v_pk_add_f32 v[20:21], v[32:33], v[26:27] neg_lo:[0,1] neg_hi:[0,1]
	v_pk_add_f32 v[26:27], v[4:5], v[28:29]
	v_mov_b32_e32 v24, v27
	v_mov_b32_e32 v15, v18
	v_pk_add_f32 v[18:19], v[24:25], v[14:15] neg_lo:[0,1] neg_hi:[0,1]
	v_mov_b32_e32 v21, v27
	v_pk_add_f32 v[26:27], v[24:25], v[18:19] neg_lo:[0,1] neg_hi:[0,1]
	v_pk_add_f32 v[14:15], v[14:15], v[26:27] neg_lo:[0,1] neg_hi:[0,1]
	v_pk_add_f32 v[18:19], v[22:23], v[18:19] neg_lo:[0,1] neg_hi:[0,1]
	v_pk_add_f32 v[14:15], v[18:19], v[14:15]
	v_mov_b32_e32 v18, v20
	v_mov_b32_e32 v19, v16
	v_pk_add_f32 v[22:23], v[18:19], v[12:13]
	v_pk_add_f32 v[14:15], v[22:23], v[14:15]
	v_mov_b32_e32 v17, v25
	v_pk_add_f32 v[24:25], v[24:25], v[14:15]
	v_mov_b32_e32 v26, v23
	v_mov_b32_e32 v27, v25
	;; [unrolled: 1-line block ×4, first 2 shown]
	v_pk_add_f32 v[16:17], v[26:27], v[16:17] neg_lo:[0,1] neg_hi:[0,1]
	v_pk_add_f32 v[20:21], v[28:29], v[20:21] neg_lo:[0,1] neg_hi:[0,1]
	v_mov_b32_e32 v26, v13
	v_mov_b32_e32 v27, v15
	;; [unrolled: 1-line block ×5, first 2 shown]
	v_pk_add_f32 v[26:27], v[26:27], v[16:17] neg_lo:[0,1] neg_hi:[0,1]
	v_pk_add_f32 v[16:17], v[22:23], v[28:29] neg_lo:[0,1] neg_hi:[0,1]
	;; [unrolled: 1-line block ×4, first 2 shown]
	v_mov_b32_e32 v14, v12
	v_mov_b32_e32 v15, v26
	v_pk_add_f32 v[14:15], v[14:15], v[16:17]
	v_mov_b32_e32 v26, v13
	v_cmp_eq_f32_e64 s[4:5], 1.0, v2
	v_pk_add_f32 v[12:13], v[14:15], v[26:27]
	v_cndmask_b32_e64 v19, 2.0, 1.0, s[4:5]
	v_cmp_eq_f32_e64 s[4:5], 1.0, v3
	v_pk_add_f32 v[14:15], v[24:25], v[12:13]
	v_cndmask_b32_e64 v18, 2.0, 1.0, s[4:5]
	v_pk_add_f32 v[16:17], v[14:15], v[24:25] neg_lo:[0,1] neg_hi:[0,1]
	v_pk_mul_f32 v[20:21], v[18:19], v[14:15]
	v_pk_add_f32 v[12:13], v[12:13], v[16:17] neg_lo:[0,1] neg_hi:[0,1]
	v_pk_fma_f32 v[14:15], v[18:19], v[14:15], v[20:21] neg_lo:[0,0,1] neg_hi:[0,0,1]
	v_pk_fma_f32 v[12:13], v[18:19], v[12:13], v[14:15]
	s_movk_i32 s23, 0x204
	v_pk_add_f32 v[14:15], v[20:21], v[12:13]
	v_cmp_class_f32_e64 s[4:5], v21, s23
	v_pk_add_f32 v[16:17], v[14:15], v[20:21] neg_lo:[0,1] neg_hi:[0,1]
	v_cndmask_b32_e64 v15, v15, v21, s[4:5]
	v_cmp_class_f32_e64 s[4:5], v20, s23
	v_mov_b32_e32 v5, 0x204
	v_pk_add_f32 v[16:17], v[12:13], v[16:17] neg_lo:[0,1] neg_hi:[0,1]
	v_cndmask_b32_e64 v14, v14, v20, s[4:5]
	v_cmp_class_f32_e64 s[4:5], v15, v5
	s_mov_b32 s24, 0x42b17218
	v_cndmask_b32_e64 v17, v17, 0, s[4:5]
	v_mov_b32_e32 v12, 0x37000000
	v_cmp_eq_f32_e64 s[4:5], s24, v15
	v_cndmask_b32_e64 v21, 0, v12, s[4:5]
	v_cmp_eq_f32_e64 s[4:5], s24, v14
	v_cndmask_b32_e64 v20, 0, v12, s[4:5]
	v_pk_add_f32 v[22:23], v[14:15], v[20:21] neg_lo:[0,1] neg_hi:[0,1]
	s_mov_b32 s25, 0x3fb8aa3b
	v_mul_f32_e32 v13, 0x3fb8aa3b, v23
	v_fma_f32 v15, v23, s25, -v13
	v_rndne_f32_e32 v24, v13
	v_fmac_f32_e32 v15, 0x32a5705f, v23
	v_sub_f32_e32 v13, v13, v24
	v_add_f32_e32 v13, v13, v15
	v_exp_f32_e32 v13, v13
	v_cvt_i32_f32_e32 v24, v24
	v_cmp_class_f32_e64 s[4:5], v14, v5
	s_mov_b32 s26, 0xc2ce8ed0
	v_cndmask_b32_e64 v16, v16, 0, s[4:5]
	v_ldexp_f32 v13, v13, v24
	v_cmp_ngt_f32_e64 s[4:5], s26, v23
	v_pk_add_f32 v[14:15], v[20:21], v[16:17]
	v_cndmask_b32_e64 v16, 0, v13, s[4:5]
	v_mul_f32_e32 v13, 0x3fb8aa3b, v22
	v_fma_f32 v17, v22, s25, -v13
	v_rndne_f32_e32 v20, v13
	v_fmac_f32_e32 v17, 0x32a5705f, v22
	v_sub_f32_e32 v13, v13, v20
	v_add_f32_e32 v13, v13, v17
	v_exp_f32_e32 v21, v13
	v_cvt_i32_f32_e32 v20, v20
	v_mov_b32_e32 v13, 0x7f800000
	v_cmp_nlt_f32_e64 s[4:5], s24, v23
	v_cndmask_b32_e64 v17, v13, v16, s[4:5]
	v_ldexp_f32 v16, v21, v20
	v_cmp_ngt_f32_e64 s[4:5], s26, v22
	v_cndmask_b32_e64 v16, 0, v16, s[4:5]
	v_cmp_nlt_f32_e64 s[4:5], s24, v22
	v_cndmask_b32_e64 v16, v13, v16, s[4:5]
	v_pk_fma_f32 v[14:15], v[16:17], v[14:15], v[16:17]
	v_cmp_class_f32_e64 s[4:5], v16, v5
	v_cndmask_b32_e64 v16, v14, v16, s[4:5]
	v_cmp_class_f32_e64 s[4:5], v17, v5
	v_cndmask_b32_e64 v5, v15, v17, s[4:5]
	v_trunc_f32_e32 v14, v19
	v_trunc_f32_e32 v15, v18
	v_cmp_eq_f32_e64 s[4:5], v14, v19
	v_cmp_eq_f32_e64 s[6:7], v15, v18
	v_pk_mul_f32 v[14:15], v[18:19], 0.5 op_sel_hi:[1,0]
	v_trunc_f32_e32 v17, v15
	v_trunc_f32_e32 v18, v14
	v_cmp_neq_f32_e64 s[10:11], v17, v15
	v_cmp_neq_f32_e64 s[8:9], v18, v14
	s_and_b64 s[10:11], s[4:5], s[10:11]
	v_cndmask_b32_e64 v14, 1.0, v2, s[10:11]
	s_and_b64 s[8:9], s[6:7], s[8:9]
	s_brev_b32 s28, -2
	v_cndmask_b32_e64 v15, 1.0, v3, s[8:9]
	v_bfi_b32 v5, s28, v5, v14
	v_bfi_b32 v14, s28, v16, v15
	v_cndmask_b32_e64 v16, v11, v5, s[4:5]
	v_cmp_gt_f32_e64 s[4:5], 0, v2
	s_mov_b32 s27, 0x7f800000
	v_cndmask_b32_e64 v15, v11, v14, s[6:7]
	v_cndmask_b32_e64 v5, v5, v16, s[4:5]
	v_cmp_gt_f32_e64 s[4:5], 0, v3
	v_cmp_eq_f32_e64 s[6:7], 0, v2
	v_cndmask_b32_e64 v14, v14, v15, s[4:5]
	v_cmp_eq_f32_e64 s[4:5], s27, v4
	v_cndmask_b32_e64 v4, v13, 0, s[6:7]
	;; [unrolled: 2-line block ×3, first 2 shown]
	v_cmp_class_f32_e64 s[30:31], v3, s23
	v_cndmask_b32_e64 v15, v13, 0, s[12:13]
	v_cndmask_b32_e64 v17, 0, v3, s[8:9]
	v_bfi_b32 v4, s28, v4, v16
	s_or_b64 s[4:5], s[6:7], s[4:5]
	v_bfi_b32 v15, s28, v15, v17
	s_or_b64 s[8:9], s[30:31], s[12:13]
	v_cndmask_b32_e64 v4, v5, v4, s[4:5]
	v_cmp_o_f32_e64 s[4:5], v2, v2
	v_cndmask_b32_e64 v14, v14, v15, s[8:9]
	v_cndmask_b32_e64 v4, v11, v4, s[4:5]
	v_cmp_o_f32_e64 s[4:5], v3, v3
	v_cndmask_b32_e64 v2, v11, v14, s[4:5]
	s_mov_b32 s19, 0
	v_add_f32_e32 v3, v2, v4
	v_mov_b32_e32 v14, 0
	s_brev_b32 s29, 18
	s_mov_b32 s30, 0xfe5163ab
	s_mov_b32 s31, 0x3c439041
	;; [unrolled: 1-line block ×10, first 2 shown]
	v_mov_b32_e32 v15, 0x3ecccdef
	s_mov_b32 s41, 0x41200000
	v_mov_b32_e32 v5, 0
	v_not_b32_e32 v16, 63
	v_not_b32_e32 v17, 31
	s_branch .LBB1_7
.LBB1_6:                                ;   in Loop: Header=BB1_7 Depth=1
	s_or_b64 exec, exec, s[4:5]
	s_waitcnt vmcnt(0)
	v_add_f32_e32 v21, -1.0, v21
	v_fma_f32 v21, v21, s18, 1.0
	v_add_f32_e32 v38, -1.0, v21
	v_cmp_eq_f32_e64 s[4:5], 1.0, v38
	v_frexp_mant_f32_e64 v21, |v38|
	v_cndmask_b32_e64 v39, 2.0, 1.0, s[4:5]
	v_cmp_gt_f32_e64 s[4:5], s21, v21
	v_cndmask_b32_e64 v22, 1.0, 2.0, s[4:5]
	v_mul_f32_e32 v21, v21, v22
	v_add_f32_e32 v22, 1.0, v21
	v_rcp_f32_e32 v30, v22
	v_add_f32_e32 v23, -1.0, v22
	v_sub_f32_e32 v25, v21, v23
	v_add_f32_e32 v23, -1.0, v21
	v_mul_f32_e32 v21, v23, v30
	v_mul_f32_e32 v24, v22, v21
	v_fma_f32 v26, v21, v22, -v24
	v_fmac_f32_e32 v26, v21, v25
	v_add_f32_e32 v22, v24, v26
	v_sub_f32_e32 v25, v23, v22
	v_pk_add_f32 v[28:29], v[22:23], v[24:25] neg_lo:[0,1] neg_hi:[0,1]
	v_mov_b32_e32 v27, v22
	v_pk_add_f32 v[22:23], v[28:29], v[26:27] neg_lo:[0,1] neg_hi:[0,1]
	v_add_f32_e32 v22, v22, v23
	v_add_f32_e32 v22, v25, v22
	v_mul_f32_e32 v23, v30, v22
	v_add_f32_e32 v22, v21, v23
	v_sub_f32_e32 v21, v22, v21
	v_sub_f32_e32 v21, v23, v21
	v_mul_f32_e32 v23, v22, v22
	v_fma_f32 v25, v22, v22, -v23
	v_add_f32_e32 v24, v21, v21
	v_fmac_f32_e32 v25, v22, v24
	v_add_f32_e32 v24, v23, v25
	v_mov_b32_e32 v26, 0x3e91f4c4
	v_fmac_f32_e32 v26, 0x3e76c4e1, v24
	v_fma_f32 v26, v24, v26, v15
	v_sub_f32_e32 v23, v24, v23
	v_sub_f32_e32 v32, v25, v23
	v_mul_f32_e32 v23, v24, v26
	v_fma_f32 v25, v24, v26, -v23
	v_fmac_f32_e32 v25, v32, v26
	v_add_f32_e32 v26, v23, v25
	v_add_f32_e32 v27, 0x3f2aaaaa, v26
	v_sub_f32_e32 v23, v26, v23
	v_sub_f32_e32 v23, v25, v23
	v_add_f32_e32 v25, 0xbf2aaaaa, v27
	v_add_f32_e32 v23, 0x31739010, v23
	v_sub_f32_e32 v25, v26, v25
	v_pk_mul_f32 v[28:29], v[22:23], v[24:25]
	v_fma_f32 v26, v24, v22, -v28
	v_pk_add_f32 v[30:31], v[22:23], v[24:25]
	v_fmac_f32_e32 v26, v24, v21
	v_mov_b32_e32 v29, v31
	v_fmac_f32_e32 v26, v32, v22
	v_pk_add_f32 v[24:25], v[28:29], v[26:27]
	v_sub_f32_e32 v23, v24, v28
	v_sub_f32_e32 v23, v26, v23
	;; [unrolled: 1-line block ×3, first 2 shown]
	v_add_f32_e32 v30, v31, v26
	v_mov_b32_e32 v26, v25
	v_pk_mul_f32 v[26:27], v[24:25], v[26:27]
	v_cvt_f64_f32_e64 v[28:29], |v38|
	v_frexp_exp_i32_f64_e32 v27, v[28:29]
	v_subbrev_co_u32_e64 v27, s[4:5], 0, v27, s[4:5]
	v_cvt_f32_i32_e32 v27, v27
	v_fma_f32 v28, v24, v25, -v26
	v_fmac_f32_e32 v28, v24, v30
	v_fmac_f32_e32 v28, v23, v25
	v_mul_f32_e32 v24, 0x3f317218, v27
	v_fma_f32 v30, v27, s22, -v24
	v_fmac_f32_e32 v30, 0xb102e308, v27
	v_ldexp_f32 v31, v22, 1
	v_add_f32_e32 v25, v26, v28
	v_pk_add_f32 v[22:23], v[24:25], v[30:31]
	v_mov_b32_e32 v32, v25
	v_mov_b32_e32 v33, v23
	;; [unrolled: 1-line block ×3, first 2 shown]
	v_pk_add_f32 v[26:27], v[32:33], v[26:27] neg_lo:[0,1] neg_hi:[0,1]
	v_mov_b32_e32 v29, v25
	v_ldexp_f32 v21, v21, 1
	v_pk_add_f32 v[26:27], v[28:29], v[26:27] neg_lo:[0,1] neg_hi:[0,1]
	v_add_f32_e32 v21, v21, v26
	v_add_f32_e32 v25, v21, v27
	v_pk_add_f32 v[26:27], v[22:23], v[24:25] neg_lo:[0,1] neg_hi:[0,1]
	v_pk_add_f32 v[28:29], v[22:23], v[24:25]
	v_mov_b32_e32 v32, v26
	v_mov_b32_e32 v33, v29
	;; [unrolled: 1-line block ×3, first 2 shown]
	v_pk_add_f32 v[32:33], v[30:31], v[32:33]
	v_mov_b32_e32 v24, v33
	v_pk_add_f32 v[34:35], v[24:25], v[22:23] neg_lo:[0,1] neg_hi:[0,1]
	v_mov_b32_e32 v21, v34
	v_mov_b32_e32 v32, v29
	;; [unrolled: 1-line block ×4, first 2 shown]
	v_pk_add_f32 v[26:27], v[30:31], v[26:27] neg_lo:[0,1] neg_hi:[0,1]
	v_pk_add_f32 v[36:37], v[28:29], v[20:21] neg_lo:[0,1] neg_hi:[0,1]
	;; [unrolled: 1-line block ×3, first 2 shown]
	v_mov_b32_e32 v30, v25
	v_pk_add_f32 v[22:23], v[30:31], v[22:23] neg_lo:[0,1] neg_hi:[0,1]
	v_mov_b32_e32 v36, v26
	v_pk_add_f32 v[28:29], v[36:37], v[22:23]
	v_mov_b32_e32 v30, v29
	v_pk_add_f32 v[30:31], v[28:29], v[30:31]
	v_pk_add_f32 v[24:25], v[24:25], v[30:31]
	v_mov_b32_e32 v27, v33
	v_mov_b32_e32 v29, v24
	v_pk_add_f32 v[32:33], v[28:29], v[26:27] neg_lo:[0,1] neg_hi:[0,1]
	v_mov_b32_e32 v23, v30
	v_sub_f32_e32 v21, v28, v32
	v_pk_add_f32 v[22:23], v[22:23], v[32:33] neg_lo:[0,1] neg_hi:[0,1]
	v_sub_f32_e32 v21, v26, v21
	v_add_f32_e32 v21, v22, v21
	v_add_f32_e32 v21, v21, v23
	;; [unrolled: 1-line block ×3, first 2 shown]
	v_sub_f32_e32 v23, v22, v24
	v_sub_f32_e32 v21, v21, v23
	v_mul_f32_e32 v23, v39, v22
	v_fma_f32 v22, v39, v22, -v23
	v_fmac_f32_e32 v22, v39, v21
	v_add_f32_e32 v21, v23, v22
	v_cmp_class_f32_e64 s[4:5], v23, s23
	v_sub_f32_e32 v24, v21, v23
	v_cndmask_b32_e64 v21, v21, v23, s[4:5]
	v_cmp_eq_f32_e64 s[4:5], s24, v21
	v_cndmask_b32_e64 v23, 0, v12, s[4:5]
	v_sub_f32_e32 v22, v22, v24
	v_sub_f32_e32 v24, v21, v23
	v_mul_f32_e32 v25, 0x3fb8aa3b, v24
	v_fma_f32 v26, v24, s25, -v25
	v_rndne_f32_e32 v27, v25
	v_fmac_f32_e32 v26, 0x32a5705f, v24
	v_sub_f32_e32 v25, v25, v27
	v_add_f32_e32 v25, v25, v26
	v_exp_f32_e32 v25, v25
	v_cvt_i32_f32_e32 v26, v27
	v_cmp_neq_f32_e64 s[4:5], |v21|, s27
	v_cndmask_b32_e64 v21, 0, v22, s[4:5]
	v_cmp_ngt_f32_e64 s[4:5], s26, v24
	v_ldexp_f32 v22, v25, v26
	v_cndmask_b32_e64 v22, 0, v22, s[4:5]
	v_cmp_nlt_f32_e64 s[4:5], s24, v24
	v_add_f32_e32 v21, v23, v21
	v_cndmask_b32_e64 v22, v13, v22, s[4:5]
	v_fma_f32 v21, v22, v21, v22
	v_cmp_class_f32_e64 s[4:5], v22, s23
	v_cndmask_b32_e64 v21, v21, v22, s[4:5]
	v_trunc_f32_e32 v22, v39
	v_cmp_eq_f32_e64 s[4:5], v22, v39
	v_mul_f32_e32 v22, 0.5, v39
	v_trunc_f32_e32 v23, v22
	v_cmp_neq_f32_e64 s[6:7], v23, v22
	s_and_b64 s[6:7], s[4:5], s[6:7]
	v_cndmask_b32_e64 v22, 1.0, v38, s[6:7]
	v_bfi_b32 v21, s28, v21, v22
	v_cndmask_b32_e64 v22, v11, v21, s[4:5]
	v_cmp_gt_f32_e64 s[4:5], 0, v38
	v_cndmask_b32_e64 v21, v21, v22, s[4:5]
	v_cmp_eq_f32_e64 s[4:5], 0, v38
	v_cmp_class_f32_e64 s[8:9], v38, s23
	v_cndmask_b32_e64 v22, v13, 0, s[4:5]
	v_cndmask_b32_e64 v23, 0, v38, s[6:7]
	v_bfi_b32 v22, s28, v22, v23
	s_or_b64 s[4:5], s[4:5], s[8:9]
	v_cndmask_b32_e64 v21, v21, v22, s[4:5]
	v_cmp_o_f32_e64 s[4:5], v38, v38
	v_cndmask_b32_e64 v34, v11, v21, s[4:5]
	v_mul_f32_e32 v21, v20, v20
	v_mov_b32_e32 v22, 0x3c0881c4
	v_fmac_f32_e32 v22, 0xb94c1982, v21
	v_fma_f32 v22, v21, v22, v8
	v_mul_f32_e32 v22, v21, v22
	v_fmac_f32_e32 v20, v20, v22
	v_mov_b32_e32 v22, 0xbab64f3b
	v_fmac_f32_e32 v22, 0x37d75334, v21
	v_fma_f32 v22, v21, v22, v9
	v_fma_f32 v22, v21, v22, v10
	v_fma_f32 v21, v21, v22, 1.0
	v_and_b32_e32 v22, 1, v4
	v_lshlrev_b32_e32 v4, 30, v4
	v_cmp_eq_u32_e64 s[4:5], 0, v22
	v_and_b32_e32 v4, 0x80000000, v4
	v_xor_b32_e32 v19, v19, v18
	v_cndmask_b32_e64 v20, v21, v20, s[4:5]
	v_xor_b32_e32 v4, v19, v4
	v_xor_b32_e32 v4, v4, v20
	v_cmp_class_f32_e64 s[4:5], v18, s20
	v_cndmask_b32_e64 v37, v11, |v4|, s[4:5]
	v_cndmask_b32_e64 v35, v11, v4, s[4:5]
	v_frexp_mant_f32_e32 v4, v37
	v_cmp_gt_f32_e64 s[4:5], s21, v4
	v_cndmask_b32_e64 v18, 1.0, 2.0, s[4:5]
	v_mul_f32_e32 v4, v4, v18
	v_add_f32_e32 v18, 1.0, v4
	v_rcp_f32_e32 v26, v18
	v_add_f32_e32 v19, -1.0, v18
	v_sub_f32_e32 v21, v4, v19
	v_add_f32_e32 v19, -1.0, v4
	v_mul_f32_e32 v4, v19, v26
	v_mul_f32_e32 v20, v18, v4
	v_fma_f32 v22, v4, v18, -v20
	v_fmac_f32_e32 v22, v4, v21
	v_add_f32_e32 v18, v20, v22
	v_sub_f32_e32 v21, v19, v18
	v_pk_add_f32 v[24:25], v[18:19], v[20:21] neg_lo:[0,1] neg_hi:[0,1]
	v_mov_b32_e32 v23, v18
	v_pk_add_f32 v[18:19], v[24:25], v[22:23] neg_lo:[0,1] neg_hi:[0,1]
	v_add_f32_e32 v18, v18, v19
	v_add_f32_e32 v18, v21, v18
	v_mul_f32_e32 v19, v26, v18
	v_add_f32_e32 v18, v4, v19
	v_sub_f32_e32 v4, v18, v4
	v_sub_f32_e32 v28, v19, v4
	v_mul_f32_e32 v4, v18, v18
	v_fma_f32 v19, v18, v18, -v4
	v_add_f32_e32 v20, v28, v28
	v_fmac_f32_e32 v19, v18, v20
	v_add_f32_e32 v20, v4, v19
	v_mov_b32_e32 v21, 0x3e91f4c4
	v_fmac_f32_e32 v21, 0x3e76c4e1, v20
	v_fma_f32 v21, v20, v21, v15
	v_sub_f32_e32 v4, v20, v4
	v_sub_f32_e32 v4, v19, v4
	v_mul_f32_e32 v19, v20, v21
	v_fma_f32 v22, v20, v21, -v19
	v_fmac_f32_e32 v22, v4, v21
	v_add_f32_e32 v21, v19, v22
	v_add_f32_e32 v23, 0x3f2aaaaa, v21
	v_sub_f32_e32 v19, v21, v19
	v_sub_f32_e32 v19, v22, v19
	v_add_f32_e32 v22, 0xbf2aaaaa, v23
	v_add_f32_e32 v19, 0x31739010, v19
	v_sub_f32_e32 v21, v21, v22
	v_pk_mul_f32 v[24:25], v[18:19], v[20:21]
	v_fma_f32 v22, v20, v18, -v24
	v_pk_add_f32 v[26:27], v[18:19], v[20:21]
	v_fmac_f32_e32 v22, v20, v28
	v_mov_b32_e32 v25, v27
	v_fmac_f32_e32 v22, v4, v18
	v_pk_add_f32 v[20:21], v[24:25], v[22:23]
	v_sub_f32_e32 v4, v20, v24
	v_sub_f32_e32 v19, v22, v4
	v_sub_f32_e32 v4, v23, v21
	v_add_f32_e32 v26, v27, v4
	v_mov_b32_e32 v4, v21
	v_cvt_f64_f32_e32 v[24:25], v37
	v_pk_mul_f32 v[22:23], v[20:21], v[4:5]
	v_frexp_exp_i32_f64_e32 v4, v[24:25]
	v_subbrev_co_u32_e64 v4, s[4:5], 0, v4, s[4:5]
	v_cvt_f32_i32_e32 v4, v4
	v_fma_f32 v24, v20, v21, -v22
	v_fmac_f32_e32 v24, v20, v26
	v_fmac_f32_e32 v24, v19, v21
	v_mul_f32_e32 v20, 0x3f317218, v4
	v_fma_f32 v26, v4, s22, -v20
	v_fmac_f32_e32 v26, 0xb102e308, v4
	v_ldexp_f32 v27, v18, 1
	v_add_f32_e32 v21, v22, v24
	v_pk_add_f32 v[18:19], v[20:21], v[26:27]
	v_ldexp_f32 v4, v28, 1
	v_mov_b32_e32 v28, v21
	v_mov_b32_e32 v29, v19
	;; [unrolled: 1-line block ×3, first 2 shown]
	v_pk_add_f32 v[22:23], v[28:29], v[22:23] neg_lo:[0,1] neg_hi:[0,1]
	v_mov_b32_e32 v25, v21
	v_pk_add_f32 v[22:23], v[24:25], v[22:23] neg_lo:[0,1] neg_hi:[0,1]
	v_add_f32_e32 v4, v4, v22
	v_add_f32_e32 v21, v4, v23
	v_pk_add_f32 v[22:23], v[18:19], v[20:21] neg_lo:[0,1] neg_hi:[0,1]
	v_pk_add_f32 v[24:25], v[18:19], v[20:21]
	v_mov_b32_e32 v28, v22
	v_mov_b32_e32 v29, v25
	;; [unrolled: 1-line block ×3, first 2 shown]
	v_pk_add_f32 v[28:29], v[26:27], v[28:29]
	v_mov_b32_e32 v4, v29
	v_pk_add_f32 v[30:31], v[4:5], v[18:19] neg_lo:[0,1] neg_hi:[0,1]
	v_mov_b32_e32 v31, v30
	v_mov_b32_e32 v28, v25
	;; [unrolled: 1-line block ×4, first 2 shown]
	v_pk_add_f32 v[22:23], v[26:27], v[22:23] neg_lo:[0,1] neg_hi:[0,1]
	v_pk_add_f32 v[32:33], v[24:25], v[30:31] neg_lo:[0,1] neg_hi:[0,1]
	;; [unrolled: 1-line block ×3, first 2 shown]
	v_mov_b32_e32 v26, v21
	v_pk_add_f32 v[18:19], v[26:27], v[18:19] neg_lo:[0,1] neg_hi:[0,1]
	v_mov_b32_e32 v32, v22
	v_pk_add_f32 v[20:21], v[32:33], v[18:19]
	v_mov_b32_e32 v24, v21
	v_pk_add_f32 v[24:25], v[20:21], v[24:25]
	v_pk_add_f32 v[26:27], v[4:5], v[24:25]
	v_mov_b32_e32 v23, v29
	v_mov_b32_e32 v21, v26
	v_pk_add_f32 v[28:29], v[20:21], v[22:23] neg_lo:[0,1] neg_hi:[0,1]
	v_mov_b32_e32 v19, v24
	v_sub_f32_e32 v4, v20, v28
	v_pk_add_f32 v[18:19], v[18:19], v[28:29] neg_lo:[0,1] neg_hi:[0,1]
	v_sub_f32_e32 v4, v22, v4
	v_add_f32_e32 v4, v18, v4
	v_add_f32_e32 v4, v4, v19
	v_cmp_eq_f32_e64 s[6:7], 1.0, v35
	v_add_f32_e32 v18, v26, v4
	v_cndmask_b32_e64 v36, 2.0, 1.0, s[6:7]
	v_sub_f32_e32 v19, v18, v26
	v_sub_f32_e32 v4, v4, v19
	v_mul_f32_e32 v19, v36, v18
	v_fma_f32 v18, v36, v18, -v19
	v_fmac_f32_e32 v18, v36, v4
	v_add_f32_e32 v4, v19, v18
	v_cmp_class_f32_e64 s[4:5], v19, s23
	v_sub_f32_e32 v20, v4, v19
	v_cndmask_b32_e64 v4, v4, v19, s[4:5]
	v_cmp_eq_f32_e64 s[4:5], s24, v4
	v_cndmask_b32_e64 v19, 0, v12, s[4:5]
	v_sub_f32_e32 v18, v18, v20
	v_sub_f32_e32 v20, v4, v19
	v_mul_f32_e32 v21, 0x3fb8aa3b, v20
	v_fma_f32 v22, v20, s25, -v21
	v_rndne_f32_e32 v23, v21
	v_fmac_f32_e32 v22, 0x32a5705f, v20
	v_sub_f32_e32 v21, v21, v23
	v_add_f32_e32 v21, v21, v22
	v_exp_f32_e32 v21, v21
	v_cvt_i32_f32_e32 v22, v23
	v_cmp_neq_f32_e64 s[4:5], |v4|, s27
	v_cndmask_b32_e64 v4, 0, v18, s[4:5]
	v_cmp_ngt_f32_e64 s[4:5], s26, v20
	v_ldexp_f32 v18, v21, v22
	v_cndmask_b32_e64 v18, 0, v18, s[4:5]
	v_cmp_nlt_f32_e64 s[4:5], s24, v20
	v_add_f32_e32 v4, v19, v4
	v_cndmask_b32_e64 v18, v13, v18, s[4:5]
	v_fma_f32 v4, v18, v4, v18
	v_cmp_class_f32_e64 s[4:5], v18, s23
	v_cndmask_b32_e64 v4, v4, v18, s[4:5]
	v_trunc_f32_e32 v18, v36
	v_cmp_eq_f32_e64 s[4:5], v18, v36
	v_mul_f32_e32 v18, 0.5, v36
	v_trunc_f32_e32 v19, v18
	v_cmp_neq_f32_e64 s[6:7], v19, v18
	s_and_b64 s[6:7], s[4:5], s[6:7]
	v_cndmask_b32_e64 v18, 1.0, v35, s[6:7]
	v_bfi_b32 v4, s28, v4, v18
	v_cndmask_b32_e64 v18, v11, v4, s[4:5]
	v_cmp_gt_f32_e64 s[4:5], 0, v35
	v_cmp_eq_f32_e64 s[8:9], 0, v35
	v_cndmask_b32_e64 v4, v4, v18, s[4:5]
	v_cmp_eq_f32_e64 s[4:5], s27, v37
	v_cndmask_b32_e64 v18, v13, 0, s[8:9]
	v_cndmask_b32_e64 v19, 0, v35, s[6:7]
	v_bfi_b32 v18, s28, v18, v19
	s_or_b64 s[4:5], s[8:9], s[4:5]
	v_cndmask_b32_e64 v4, v4, v18, s[4:5]
	v_fma_f32 v4, v4, s41, 1.0
	v_cmp_o_f32_e64 s[4:5], v35, v35
	v_cndmask_b32_e64 v4, v11, v4, s[4:5]
	s_add_i32 s19, s19, 4
	s_cmpk_lg_i32 s19, 0x74
	v_fmac_f32_e32 v3, v34, v4
	s_cbranch_scc0 .LBB1_11
.LBB1_7:                                ; =>This Inner Loop Header: Depth=1
	v_add_u32_e32 v4, s19, v14
	buffer_load_dword v18, v4, s[0:3], 0 offen offset:4
	buffer_load_dword v21, v4, s[0:3], 0 offen
                                        ; implicit-def: $vgpr20
	s_waitcnt vmcnt(1)
	v_add_f32_e32 v4, -1.0, v18
	v_fma_f32 v4, v4, s18, 1.0
	v_mul_f32_e32 v18, 0x40490e56, v4
	v_and_b32_e32 v19, 0x7fffffff, v18
	v_cmp_nlt_f32_e64 s[4:5], |v18|, s29
                                        ; implicit-def: $vgpr4
	s_and_saveexec_b64 s[6:7], s[4:5]
	s_xor_b64 s[12:13], exec, s[6:7]
	s_cbranch_execz .LBB1_9
; %bb.8:                                ;   in Loop: Header=BB1_7 Depth=1
	v_lshrrev_b32_e32 v4, 23, v19
	v_add_u32_e32 v4, 0xffffff88, v4
	v_cmp_lt_u32_e64 s[4:5], 63, v4
	v_cndmask_b32_e64 v20, 0, v16, s[4:5]
	v_add_u32_e32 v4, v20, v4
	v_cmp_lt_u32_e64 s[6:7], 31, v4
	v_cndmask_b32_e64 v20, 0, v17, s[6:7]
	;; [unrolled: 3-line block ×3, first 2 shown]
	v_add_u32_e32 v20, v20, v4
	v_and_b32_e32 v4, 0x7fffff, v19
	v_or_b32_e32 v34, 0x800000, v4
	v_mad_u64_u32 v[22:23], s[10:11], v34, s30, 0
	v_mov_b32_e32 v4, v23
	v_mad_u64_u32 v[24:25], s[10:11], v34, s31, v[4:5]
	v_mov_b32_e32 v4, v25
	;; [unrolled: 2-line block ×6, first 2 shown]
	v_mad_u64_u32 v[34:35], s[10:11], v34, s37, v[4:5]
	v_cndmask_b32_e64 v23, v32, v28, s[4:5]
	v_cndmask_b32_e64 v4, v34, v30, s[4:5]
	;; [unrolled: 1-line block ×7, first 2 shown]
	v_sub_u32_e32 v29, 32, v20
	v_cmp_eq_u32_e64 s[10:11], 0, v20
	v_cndmask_b32_e64 v20, v28, v24, s[4:5]
	v_cndmask_b32_e64 v4, v4, v25, s[8:9]
	;; [unrolled: 1-line block ×4, first 2 shown]
	v_alignbit_b32 v30, v4, v25, v29
	v_cndmask_b32_e64 v23, v23, v24, s[8:9]
	v_cndmask_b32_e64 v4, v30, v4, s[10:11]
	v_alignbit_b32 v27, v25, v23, v29
	v_cndmask_b32_e64 v25, v27, v25, s[10:11]
	v_bfe_u32 v30, v4, 29, 1
	v_cndmask_b32_e64 v22, v26, v22, s[4:5]
	v_alignbit_b32 v27, v4, v25, 30
	v_sub_u32_e32 v31, 0, v30
	v_cndmask_b32_e64 v20, v20, v22, s[6:7]
	v_xor_b32_e32 v32, v27, v31
	v_cndmask_b32_e64 v20, v24, v20, s[8:9]
	v_alignbit_b32 v22, v23, v20, v29
	v_ffbh_u32_e32 v24, v32
	v_cndmask_b32_e64 v22, v22, v23, s[10:11]
	v_add_u32_e32 v24, 1, v24
	v_cmp_ne_u32_e64 s[4:5], v27, v31
	v_alignbit_b32 v23, v25, v22, 30
	v_cndmask_b32_e64 v24, 33, v24, s[4:5]
	v_alignbit_b32 v20, v22, v20, 30
	v_xor_b32_e32 v23, v23, v31
	v_sub_u32_e32 v25, 32, v24
	v_xor_b32_e32 v20, v20, v31
	v_alignbit_b32 v26, v32, v23, v25
	v_alignbit_b32 v20, v23, v20, v25
	;; [unrolled: 1-line block ×3, first 2 shown]
	v_ffbh_u32_e32 v23, v22
	v_min_u32_e32 v23, 32, v23
	v_lshrrev_b32_e32 v28, 29, v4
	v_sub_u32_e32 v25, 31, v23
	v_alignbit_b32 v20, v22, v20, v25
	v_lshlrev_b32_e32 v22, 31, v28
	v_or_b32_e32 v25, 0x33800000, v22
	v_add_lshl_u32 v23, v23, v24, 23
	v_lshrrev_b32_e32 v20, 9, v20
	v_sub_u32_e32 v23, v25, v23
	v_or_b32_e32 v20, v23, v20
	v_alignbit_b32 v23, v24, v26, 9
	v_or_b32_e32 v22, v23, v22
	v_xor_b32_e32 v22, 1.0, v22
	v_mul_f32_e32 v23, 0x3fc90fda, v22
	v_fma_f32 v24, v22, s38, -v23
	v_fmac_f32_e32 v24, 0x33a22168, v22
	v_fmac_f32_e32 v24, 0x3fc90fda, v20
	v_lshrrev_b32_e32 v4, 30, v4
	v_add_f32_e32 v20, v23, v24
	v_add_u32_e32 v4, v30, v4
.LBB1_9:                                ;   in Loop: Header=BB1_7 Depth=1
	s_andn2_saveexec_b64 s[4:5], s[12:13]
	s_cbranch_execz .LBB1_6
; %bb.10:                               ;   in Loop: Header=BB1_7 Depth=1
	v_mul_f32_e64 v4, |v18|, s39
	v_rndne_f32_e32 v22, v4
	v_cvt_i32_f32_e32 v4, v22
	v_fma_f32 v20, v22, s40, |v18|
	v_fmac_f32_e32 v20, 0xb3a22168, v22
	v_fmac_f32_e32 v20, 0xa7c234c4, v22
	s_branch .LBB1_6
.LBB1_11:
	buffer_load_dword v4, off, s[0:3], 0 offset:128
	buffer_load_dword v8, off, s[0:3], 0 offset:244
	s_mov_b32 s4, 0x3e800000
	s_brev_b32 s5, 18
                                        ; implicit-def: $vgpr11
                                        ; implicit-def: $vgpr12
	s_waitcnt vmcnt(1)
	v_add_f32_e32 v4, -1.0, v4
	v_fma_f32 v4, v4, s4, 1.0
	v_mul_f32_e32 v4, 0x40490e56, v4
	v_and_b32_e32 v5, 0x7fffffff, v4
	v_cmp_nlt_f32_e64 s[4:5], |v4|, s5
	s_and_saveexec_b64 s[6:7], s[4:5]
	s_xor_b64 s[12:13], exec, s[6:7]
	s_cbranch_execz .LBB1_13
; %bb.12:
	v_lshrrev_b32_e32 v9, 23, v5
	v_add_u32_e32 v9, 0xffffff88, v9
	v_not_b32_e32 v10, 63
	v_cmp_lt_u32_e64 s[4:5], 63, v9
	v_cndmask_b32_e64 v10, 0, v10, s[4:5]
	v_add_u32_e32 v9, v10, v9
	v_not_b32_e32 v10, 31
	v_cmp_lt_u32_e64 s[6:7], 31, v9
	v_cndmask_b32_e64 v12, 0, v10, s[6:7]
	v_add_u32_e32 v9, v12, v9
	v_cmp_lt_u32_e64 s[8:9], 31, v9
	v_cndmask_b32_e64 v10, 0, v10, s[8:9]
	v_add_u32_e32 v9, v10, v9
	v_and_b32_e32 v10, 0x7fffff, v5
	v_or_b32_e32 v24, 0x800000, v10
	s_mov_b32 s10, 0xfe5163ab
	v_mad_u64_u32 v[12:13], s[10:11], v24, s10, 0
	v_mov_b32_e32 v11, 0
	v_mov_b32_e32 v10, v13
	s_mov_b32 s10, 0x3c439041
	v_mad_u64_u32 v[14:15], s[10:11], v24, s10, v[10:11]
	v_mov_b32_e32 v10, v15
	s_mov_b32 s10, 0xdb629599
	v_mad_u64_u32 v[16:17], s[10:11], v24, s10, v[10:11]
	;; [unrolled: 3-line block ×6, first 2 shown]
	v_cndmask_b32_e64 v13, v22, v18, s[4:5]
	v_cndmask_b32_e64 v10, v10, v20, s[4:5]
	;; [unrolled: 1-line block ×9, first 2 shown]
	v_sub_u32_e32 v17, 32, v9
	v_alignbit_b32 v19, v10, v15, v17
	v_cmp_eq_u32_e64 s[10:11], 0, v9
	v_cndmask_b32_e64 v9, v19, v10, s[10:11]
	v_cndmask_b32_e64 v10, v18, v14, s[4:5]
	;; [unrolled: 1-line block ×4, first 2 shown]
	v_alignbit_b32 v14, v15, v13, v17
	v_cndmask_b32_e64 v12, v16, v12, s[4:5]
	v_cndmask_b32_e64 v14, v14, v15, s[10:11]
	v_bfe_u32 v19, v9, 29, 1
	v_cndmask_b32_e64 v10, v10, v12, s[6:7]
	v_alignbit_b32 v15, v9, v14, 30
	v_sub_u32_e32 v20, 0, v19
	v_cndmask_b32_e64 v10, v11, v10, s[8:9]
	v_xor_b32_e32 v21, v15, v20
	v_alignbit_b32 v11, v13, v10, v17
	v_cndmask_b32_e64 v11, v11, v13, s[10:11]
	v_ffbh_u32_e32 v13, v21
	v_add_u32_e32 v13, 1, v13
	v_cmp_ne_u32_e64 s[4:5], v15, v20
	v_alignbit_b32 v12, v14, v11, 30
	v_cndmask_b32_e64 v13, 33, v13, s[4:5]
	v_alignbit_b32 v10, v11, v10, 30
	v_xor_b32_e32 v12, v12, v20
	v_sub_u32_e32 v14, 32, v13
	v_xor_b32_e32 v10, v10, v20
	v_alignbit_b32 v15, v21, v12, v14
	v_alignbit_b32 v10, v12, v10, v14
	;; [unrolled: 1-line block ×3, first 2 shown]
	v_ffbh_u32_e32 v12, v11
	v_min_u32_e32 v12, 32, v12
	v_lshrrev_b32_e32 v18, 29, v9
	v_sub_u32_e32 v14, 31, v12
	v_alignbit_b32 v10, v11, v10, v14
	v_lshlrev_b32_e32 v11, 31, v18
	v_or_b32_e32 v14, 0x33800000, v11
	v_add_lshl_u32 v12, v12, v13, 23
	v_lshrrev_b32_e32 v10, 9, v10
	v_sub_u32_e32 v12, v14, v12
	v_or_b32_e32 v10, v12, v10
	v_alignbit_b32 v12, v13, v15, 9
	v_or_b32_e32 v11, v12, v11
	v_xor_b32_e32 v11, 1.0, v11
	s_mov_b32 s4, 0x3fc90fda
	v_mul_f32_e32 v12, 0x3fc90fda, v11
	v_fma_f32 v13, v11, s4, -v12
	v_fmac_f32_e32 v13, 0x33a22168, v11
	v_fmac_f32_e32 v13, 0x3fc90fda, v10
	v_lshrrev_b32_e32 v9, 30, v9
	v_add_f32_e32 v12, v12, v13
	v_add_u32_e32 v11, v19, v9
.LBB1_13:
	s_andn2_saveexec_b64 s[4:5], s[12:13]
; %bb.14:
	s_mov_b32 s6, 0x3f22f983
	v_mul_f32_e64 v9, |v4|, s6
	v_rndne_f32_e32 v9, v9
	s_mov_b32 s6, 0xbfc90fda
	v_cvt_i32_f32_e32 v11, v9
	v_fma_f32 v12, v9, s6, |v4|
	v_fmac_f32_e32 v12, 0xb3a22168, v9
	v_fmac_f32_e32 v12, 0xa7c234c4, v9
; %bb.15:
	s_or_b64 exec, exec, s[4:5]
	s_waitcnt vmcnt(0)
	v_add_f32_e32 v8, -1.0, v8
	s_mov_b32 s18, 0x3e800000
	v_mul_f32_e32 v13, v12, v12
	v_mov_b32_e32 v9, 0x3c0881c4
	v_fma_f32 v15, v8, s18, 1.0
	v_fmac_f32_e32 v9, 0xb94c1982, v13
	v_mov_b32_e32 v8, 0xbe2aaa9d
	v_fma_f32 v9, v13, v9, v8
	v_mul_f32_e32 v9, v13, v9
	v_mov_b32_e32 v10, 0xbab64f3b
	v_fmac_f32_e32 v12, v12, v9
	v_fmac_f32_e32 v10, 0x37d75334, v13
	v_mov_b32_e32 v9, 0x3d2aabf7
	v_fma_f32 v14, v13, v10, v9
	v_mov_b32_e32 v10, 0xbf000004
	v_fma_f32 v14, v13, v14, v10
	v_fma_f32 v13, v13, v14, 1.0
	v_and_b32_e32 v14, 1, v11
	v_lshlrev_b32_e32 v11, 30, v11
	v_cmp_eq_u32_e64 s[4:5], 0, v14
	v_and_b32_e32 v11, 0x80000000, v11
	v_xor_b32_e32 v5, v5, v4
	v_cndmask_b32_e64 v12, v13, v12, s[4:5]
	v_xor_b32_e32 v5, v5, v11
	s_movk_i32 s20, 0x1f8
	v_xor_b32_e32 v5, v5, v12
	v_mov_b32_e32 v11, 0x7fc00000
	v_cmp_class_f32_e64 s[4:5], v4, s20
	v_cndmask_b32_e64 v4, v11, v5, s[4:5]
	v_cndmask_b32_e64 v14, v11, |v5|, s[4:5]
	v_add_f32_e32 v5, -1.0, v15
	v_frexp_mant_f32_e32 v13, v14
	v_cvt_f64_f32_e32 v[16:17], v14
	v_frexp_mant_f32_e64 v12, |v5|
	s_mov_b32 s21, 0x3f2aaaab
	v_frexp_exp_i32_f64_e32 v32, v[16:17]
	v_cvt_f64_f32_e64 v[16:17], |v5|
	v_cmp_gt_f32_e64 s[4:5], s21, v13
	v_cmp_gt_f32_e64 s[6:7], s21, v12
	v_frexp_exp_i32_f64_e32 v15, v[16:17]
	v_cndmask_b32_e64 v17, 1.0, 2.0, s[4:5]
	v_cndmask_b32_e64 v16, 1.0, 2.0, s[6:7]
	v_pk_mul_f32 v[12:13], v[12:13], v[16:17]
	v_pk_add_f32 v[16:17], v[12:13], 1.0 op_sel_hi:[1,0]
	v_rcp_f32_e32 v19, v17
	v_rcp_f32_e32 v18, v16
	v_pk_add_f32 v[20:21], -1.0, v[16:17] op_sel_hi:[0,1]
	v_pk_add_f32 v[20:21], v[12:13], v[20:21] neg_lo:[0,1] neg_hi:[0,1]
	v_pk_add_f32 v[12:13], -1.0, v[12:13] op_sel_hi:[0,1]
	v_pk_mul_f32 v[22:23], v[12:13], v[18:19]
	v_pk_mul_f32 v[24:25], v[16:17], v[22:23]
	v_pk_fma_f32 v[16:17], v[22:23], v[16:17], v[24:25] neg_lo:[0,0,1] neg_hi:[0,0,1]
	v_pk_fma_f32 v[16:17], v[22:23], v[20:21], v[16:17]
	v_pk_add_f32 v[20:21], v[24:25], v[16:17]
	v_pk_add_f32 v[26:27], v[12:13], v[20:21] neg_lo:[0,1] neg_hi:[0,1]
	v_mov_b32_e32 v28, v21
	v_mov_b32_e32 v29, v13
	;; [unrolled: 1-line block ×4, first 2 shown]
	v_pk_add_f32 v[28:29], v[28:29], v[30:31] neg_lo:[0,1] neg_hi:[0,1]
	v_mov_b32_e32 v31, v21
	v_mov_b32_e32 v21, v12
	v_mov_b32_e32 v25, v26
	v_mov_b32_e32 v30, v17
	v_pk_add_f32 v[12:13], v[20:21], v[24:25] neg_lo:[0,1] neg_hi:[0,1]
	v_mov_b32_e32 v17, v20
	v_pk_add_f32 v[28:29], v[28:29], v[30:31] neg_lo:[0,1] neg_hi:[0,1]
	v_pk_add_f32 v[12:13], v[12:13], v[16:17] neg_lo:[0,1] neg_hi:[0,1]
	v_mov_b32_e32 v16, v12
	v_mov_b32_e32 v17, v28
	;; [unrolled: 1-line block ×3, first 2 shown]
	v_pk_add_f32 v[12:13], v[16:17], v[28:29]
	v_pk_add_f32 v[12:13], v[26:27], v[12:13]
	v_pk_mul_f32 v[12:13], v[18:19], v[12:13]
	v_pk_add_f32 v[16:17], v[22:23], v[12:13]
	v_pk_add_f32 v[18:19], v[16:17], v[22:23] neg_lo:[0,1] neg_hi:[0,1]
	v_pk_add_f32 v[12:13], v[12:13], v[18:19] neg_lo:[0,1] neg_hi:[0,1]
	v_pk_mul_f32 v[18:19], v[16:17], v[16:17]
	v_pk_fma_f32 v[20:21], v[16:17], v[16:17], v[18:19] neg_lo:[0,0,1] neg_hi:[0,0,1]
	v_pk_add_f32 v[22:23], v[12:13], v[12:13]
	v_pk_fma_f32 v[20:21], v[16:17], v[22:23], v[20:21]
	v_pk_add_f32 v[22:23], v[18:19], v[20:21]
	v_pk_add_f32 v[18:19], v[22:23], v[18:19] neg_lo:[0,1] neg_hi:[0,1]
	v_pk_add_f32 v[18:19], v[20:21], v[18:19] neg_lo:[0,1] neg_hi:[0,1]
	v_pk_mul_f32 v[20:21], v[16:17], v[22:23]
	v_pk_fma_f32 v[24:25], v[22:23], v[16:17], v[20:21] neg_lo:[0,0,1] neg_hi:[0,0,1]
	v_pk_fma_f32 v[24:25], v[22:23], v[12:13], v[24:25]
	v_subbrev_co_u32_e64 v26, s[4:5], 0, v32, s[4:5]
	v_pk_fma_f32 v[24:25], v[18:19], v[16:17], v[24:25]
	v_cvt_f32_i32_e32 v29, v26
	v_pk_add_f32 v[26:27], v[20:21], v[24:25]
	v_subbrev_co_u32_e64 v15, s[4:5], 0, v15, s[6:7]
	v_pk_add_f32 v[20:21], v[26:27], v[20:21] neg_lo:[0,1] neg_hi:[0,1]
	v_ldexp_f32 v31, v17, 1
	v_ldexp_f32 v35, v16, 1
	v_pk_add_f32 v[16:17], v[24:25], v[20:21] neg_lo:[0,1] neg_hi:[0,1]
	v_mov_b32_e32 v20, 0x3e91f4c4
	s_mov_b32 s4, 0x3e76c4e1
	v_pk_fma_f32 v[20:21], v[22:23], s[4:5], v[20:21] op_sel_hi:[1,0,0]
	s_mov_b32 s4, 0x3ecccdef
	v_pk_fma_f32 v[20:21], v[22:23], v[20:21], s[4:5] op_sel_hi:[1,1,0]
	v_pk_mul_f32 v[24:25], v[22:23], v[20:21]
	v_cvt_f32_i32_e32 v15, v15
	v_pk_fma_f32 v[22:23], v[22:23], v[20:21], v[24:25] neg_lo:[0,0,1] neg_hi:[0,0,1]
	v_pk_fma_f32 v[18:19], v[18:19], v[20:21], v[22:23]
	v_pk_add_f32 v[20:21], v[24:25], v[18:19]
	v_pk_add_f32 v[22:23], v[20:21], v[24:25] neg_lo:[0,1] neg_hi:[0,1]
	s_mov_b32 s22, 0x3f317218
	v_mul_f32_e32 v32, 0x3f317218, v15
	v_mov_b32_e32 v24, v19
	s_mov_b32 s5, 0x3f2aaaaa
	v_mov_b32_e32 v36, v23
	v_fma_f32 v34, v15, s22, -v32
	v_pk_add_f32 v[24:25], v[24:25], v[36:37] neg_lo:[0,1] neg_hi:[0,1]
	v_pk_add_f32 v[36:37], v[20:21], s[4:5]
	v_fmac_f32_e32 v34, 0xb102e308, v15
	v_mov_b32_e32 v25, v37
	v_mov_b32_e32 v37, 0x3f2aaaaa
	;; [unrolled: 1-line block ×4, first 2 shown]
	s_mov_b32 s6, 0x31739010
	v_pk_add_f32 v[18:19], v[18:19], v[22:23] neg_lo:[0,1] neg_hi:[0,1]
	v_pk_add_f32 v[22:23], v[36:37], v[14:15]
	s_mov_b32 s7, 0xbf2aaaaa
	v_mov_b32_e32 v19, v23
	v_pk_add_f32 v[24:25], v[24:25], s[6:7]
	v_pk_add_f32 v[18:19], v[18:19], s[6:7]
	v_mov_b32_e32 v22, v19
	v_mov_b32_e32 v23, v25
	v_pk_add_f32 v[22:23], v[20:21], v[22:23] neg_lo:[0,1] neg_hi:[0,1]
	v_mov_b32_e32 v19, v24
	s_mov_b32 s4, s5
	v_pk_add_f32 v[18:19], v[18:19], v[22:23]
	v_pk_add_f32 v[20:21], v[20:21], s[4:5] op_sel_hi:[1,0]
	v_pk_add_f32 v[22:23], v[20:21], v[18:19]
	v_pk_mul_f32 v[24:25], v[26:27], v[22:23]
	v_pk_add_f32 v[20:21], v[20:21], v[22:23] neg_lo:[0,1] neg_hi:[0,1]
	v_pk_add_f32 v[18:19], v[18:19], v[20:21]
	v_pk_fma_f32 v[20:21], v[26:27], v[22:23], v[24:25] neg_lo:[0,0,1] neg_hi:[0,0,1]
	v_pk_fma_f32 v[18:19], v[26:27], v[18:19], v[20:21]
	v_pk_fma_f32 v[16:17], v[16:17], v[22:23], v[18:19]
	v_mul_f32_e32 v28, 0x3f317218, v29
	v_pk_add_f32 v[18:19], v[24:25], v[16:17]
	v_fma_f32 v30, v29, s22, -v28
	v_pk_add_f32 v[22:23], v[18:19], v[24:25] neg_lo:[0,1] neg_hi:[0,1]
	v_fmac_f32_e32 v30, 0xb102e308, v29
	v_ldexp_f32 v13, v13, 1
	v_ldexp_f32 v12, v12, 1
	v_mov_b32_e32 v29, v19
	v_pk_add_f32 v[16:17], v[16:17], v[22:23] neg_lo:[0,1] neg_hi:[0,1]
	v_mov_b32_e32 v33, v18
	v_pk_add_f32 v[20:21], v[28:29], v[30:31]
	v_pk_add_f32 v[12:13], v[12:13], v[16:17]
	;; [unrolled: 1-line block ×3, first 2 shown]
	v_mov_b32_e32 v22, v17
	v_mov_b32_e32 v23, v21
	;; [unrolled: 1-line block ×4, first 2 shown]
	v_pk_add_f32 v[24:25], v[22:23], v[24:25] neg_lo:[0,1] neg_hi:[0,1]
	v_pk_add_f32 v[18:19], v[18:19], v[24:25] neg_lo:[0,1] neg_hi:[0,1]
	v_pk_add_f32 v[12:13], v[12:13], v[18:19]
	v_mov_b32_e32 v29, v13
	v_pk_add_f32 v[18:19], v[20:21], v[28:29] neg_lo:[0,1] neg_hi:[0,1]
	v_mov_b32_e32 v33, v12
	v_pk_add_f32 v[24:25], v[20:21], v[28:29]
	v_mov_b32_e32 v15, v20
	v_pk_add_f32 v[18:19], v[30:31], v[18:19] neg_lo:[0,1] neg_hi:[0,1]
	v_pk_add_f32 v[30:31], v[16:17], v[32:33]
	v_pk_add_f32 v[26:27], v[14:15], v[24:25]
	v_mov_b32_e32 v24, v31
	v_pk_add_f32 v[28:29], v[16:17], v[32:33] neg_lo:[0,1] neg_hi:[0,1]
	v_pk_add_f32 v[22:23], v[24:25], v[22:23] neg_lo:[0,1] neg_hi:[0,1]
	v_mov_b32_e32 v15, v16
	v_pk_add_f32 v[12:13], v[12:13], v[22:23] neg_lo:[0,1] neg_hi:[0,1]
	v_pk_add_f32 v[22:23], v[34:35], v[28:29] neg_lo:[0,1] neg_hi:[0,1]
	v_pk_add_f32 v[28:29], v[14:15], v[30:31]
	v_mov_b32_e32 v26, v29
	v_mov_b32_e32 v17, v20
	v_pk_add_f32 v[20:21], v[26:27], v[16:17] neg_lo:[0,1] neg_hi:[0,1]
	v_mov_b32_e32 v23, v29
	v_pk_add_f32 v[28:29], v[26:27], v[20:21] neg_lo:[0,1] neg_hi:[0,1]
	v_pk_add_f32 v[16:17], v[16:17], v[28:29] neg_lo:[0,1] neg_hi:[0,1]
	;; [unrolled: 1-line block ×3, first 2 shown]
	v_pk_add_f32 v[16:17], v[20:21], v[16:17]
	v_mov_b32_e32 v20, v22
	v_mov_b32_e32 v21, v18
	v_pk_add_f32 v[24:25], v[20:21], v[12:13]
	v_pk_add_f32 v[16:17], v[24:25], v[16:17]
	v_mov_b32_e32 v19, v27
	v_pk_add_f32 v[26:27], v[26:27], v[16:17]
	v_mov_b32_e32 v28, v25
	v_mov_b32_e32 v29, v27
	;; [unrolled: 1-line block ×4, first 2 shown]
	v_pk_add_f32 v[18:19], v[28:29], v[18:19] neg_lo:[0,1] neg_hi:[0,1]
	v_pk_add_f32 v[22:23], v[30:31], v[22:23] neg_lo:[0,1] neg_hi:[0,1]
	v_mov_b32_e32 v28, v13
	v_mov_b32_e32 v29, v17
	v_mov_b32_e32 v30, v22
	v_mov_b32_e32 v31, v18
	v_mov_b32_e32 v13, v16
	v_pk_add_f32 v[28:29], v[28:29], v[18:19] neg_lo:[0,1] neg_hi:[0,1]
	v_pk_add_f32 v[18:19], v[24:25], v[30:31] neg_lo:[0,1] neg_hi:[0,1]
	;; [unrolled: 1-line block ×4, first 2 shown]
	v_mov_b32_e32 v16, v12
	v_mov_b32_e32 v17, v28
	v_pk_add_f32 v[16:17], v[16:17], v[18:19]
	v_mov_b32_e32 v28, v13
	v_cmp_eq_f32_e64 s[4:5], 1.0, v4
	v_pk_add_f32 v[12:13], v[16:17], v[28:29]
	v_cndmask_b32_e64 v21, 2.0, 1.0, s[4:5]
	v_cmp_eq_f32_e64 s[4:5], 1.0, v5
	v_pk_add_f32 v[16:17], v[26:27], v[12:13]
	v_cndmask_b32_e64 v20, 2.0, 1.0, s[4:5]
	v_pk_add_f32 v[18:19], v[16:17], v[26:27] neg_lo:[0,1] neg_hi:[0,1]
	v_pk_mul_f32 v[22:23], v[20:21], v[16:17]
	v_pk_add_f32 v[12:13], v[12:13], v[18:19] neg_lo:[0,1] neg_hi:[0,1]
	v_pk_fma_f32 v[16:17], v[20:21], v[16:17], v[22:23] neg_lo:[0,0,1] neg_hi:[0,0,1]
	v_pk_fma_f32 v[12:13], v[20:21], v[12:13], v[16:17]
	s_movk_i32 s23, 0x204
	v_pk_add_f32 v[16:17], v[22:23], v[12:13]
	v_cmp_class_f32_e64 s[4:5], v23, s23
	v_pk_add_f32 v[18:19], v[16:17], v[22:23] neg_lo:[0,1] neg_hi:[0,1]
	v_cndmask_b32_e64 v17, v17, v23, s[4:5]
	v_cmp_class_f32_e64 s[4:5], v22, s23
	v_mov_b32_e32 v15, 0x204
	v_pk_add_f32 v[18:19], v[12:13], v[18:19] neg_lo:[0,1] neg_hi:[0,1]
	v_cndmask_b32_e64 v16, v16, v22, s[4:5]
	v_cmp_class_f32_e64 s[4:5], v17, v15
	s_mov_b32 s24, 0x42b17218
	v_cndmask_b32_e64 v19, v19, 0, s[4:5]
	v_mov_b32_e32 v12, 0x37000000
	v_cmp_eq_f32_e64 s[4:5], s24, v17
	v_cndmask_b32_e64 v23, 0, v12, s[4:5]
	v_cmp_eq_f32_e64 s[4:5], s24, v16
	v_cndmask_b32_e64 v22, 0, v12, s[4:5]
	v_pk_add_f32 v[24:25], v[16:17], v[22:23] neg_lo:[0,1] neg_hi:[0,1]
	s_mov_b32 s25, 0x3fb8aa3b
	v_mul_f32_e32 v13, 0x3fb8aa3b, v25
	v_fma_f32 v17, v25, s25, -v13
	v_rndne_f32_e32 v26, v13
	v_fmac_f32_e32 v17, 0x32a5705f, v25
	v_sub_f32_e32 v13, v13, v26
	v_add_f32_e32 v13, v13, v17
	v_exp_f32_e32 v13, v13
	v_cvt_i32_f32_e32 v26, v26
	v_cmp_class_f32_e64 s[4:5], v16, v15
	s_mov_b32 s26, 0xc2ce8ed0
	v_cndmask_b32_e64 v18, v18, 0, s[4:5]
	v_ldexp_f32 v13, v13, v26
	v_cmp_ngt_f32_e64 s[4:5], s26, v25
	v_pk_add_f32 v[16:17], v[22:23], v[18:19]
	v_cndmask_b32_e64 v18, 0, v13, s[4:5]
	v_mul_f32_e32 v13, 0x3fb8aa3b, v24
	v_fma_f32 v19, v24, s25, -v13
	v_rndne_f32_e32 v22, v13
	v_fmac_f32_e32 v19, 0x32a5705f, v24
	v_sub_f32_e32 v13, v13, v22
	v_add_f32_e32 v13, v13, v19
	v_exp_f32_e32 v23, v13
	v_cvt_i32_f32_e32 v22, v22
	v_mov_b32_e32 v13, 0x7f800000
	v_cmp_nlt_f32_e64 s[4:5], s24, v25
	v_cndmask_b32_e64 v19, v13, v18, s[4:5]
	v_ldexp_f32 v18, v23, v22
	v_cmp_ngt_f32_e64 s[4:5], s26, v24
	v_cndmask_b32_e64 v18, 0, v18, s[4:5]
	v_cmp_nlt_f32_e64 s[4:5], s24, v24
	v_cndmask_b32_e64 v18, v13, v18, s[4:5]
	v_pk_fma_f32 v[16:17], v[18:19], v[16:17], v[18:19]
	v_cmp_class_f32_e64 s[4:5], v18, v15
	v_cndmask_b32_e64 v18, v16, v18, s[4:5]
	v_cmp_class_f32_e64 s[4:5], v19, v15
	v_cndmask_b32_e64 v15, v17, v19, s[4:5]
	v_trunc_f32_e32 v16, v21
	v_trunc_f32_e32 v17, v20
	v_cmp_eq_f32_e64 s[4:5], v16, v21
	v_cmp_eq_f32_e64 s[6:7], v17, v20
	v_pk_mul_f32 v[16:17], v[20:21], 0.5 op_sel_hi:[1,0]
	v_trunc_f32_e32 v19, v17
	v_trunc_f32_e32 v20, v16
	v_cmp_neq_f32_e64 s[10:11], v19, v17
	v_cmp_neq_f32_e64 s[8:9], v20, v16
	s_and_b64 s[10:11], s[4:5], s[10:11]
	v_cndmask_b32_e64 v16, 1.0, v4, s[10:11]
	s_and_b64 s[8:9], s[6:7], s[8:9]
	s_brev_b32 s28, -2
	v_cndmask_b32_e64 v17, 1.0, v5, s[8:9]
	v_bfi_b32 v15, s28, v15, v16
	v_bfi_b32 v16, s28, v18, v17
	v_cndmask_b32_e64 v18, v11, v15, s[4:5]
	v_cmp_gt_f32_e64 s[4:5], 0, v4
	s_mov_b32 s27, 0x7f800000
	v_cndmask_b32_e64 v17, v11, v16, s[6:7]
	v_cndmask_b32_e64 v15, v15, v18, s[4:5]
	v_cmp_gt_f32_e64 s[4:5], 0, v5
	v_cmp_eq_f32_e64 s[6:7], 0, v4
	v_cndmask_b32_e64 v16, v16, v17, s[4:5]
	v_cmp_eq_f32_e64 s[4:5], s27, v14
	v_cndmask_b32_e64 v14, v13, 0, s[6:7]
	;; [unrolled: 2-line block ×3, first 2 shown]
	v_cmp_class_f32_e64 s[30:31], v5, s23
	v_cndmask_b32_e64 v17, v13, 0, s[12:13]
	v_cndmask_b32_e64 v19, 0, v5, s[8:9]
	v_bfi_b32 v14, s28, v14, v18
	s_or_b64 s[4:5], s[6:7], s[4:5]
	v_bfi_b32 v17, s28, v17, v19
	s_or_b64 s[8:9], s[30:31], s[12:13]
	v_cndmask_b32_e64 v14, v15, v14, s[4:5]
	v_cmp_o_f32_e64 s[4:5], v4, v4
	v_cndmask_b32_e64 v16, v16, v17, s[8:9]
	v_cndmask_b32_e64 v4, v11, v14, s[4:5]
	v_cmp_o_f32_e64 s[4:5], v5, v5
	v_cndmask_b32_e64 v5, v11, v16, s[4:5]
	s_mov_b32 s19, 0
	v_add_f32_e32 v14, v5, v4
	v_mov_b32_e32 v15, 0x80
	s_brev_b32 s29, 18
	s_mov_b32 s30, 0xfe5163ab
	s_mov_b32 s31, 0x3c439041
	;; [unrolled: 1-line block ×10, first 2 shown]
	v_mov_b32_e32 v16, 0x3ecccdef
	s_mov_b32 s41, 0x41200000
	v_mov_b32_e32 v5, 0
	v_not_b32_e32 v17, 63
	v_not_b32_e32 v18, 31
	s_branch .LBB1_17
.LBB1_16:                               ;   in Loop: Header=BB1_17 Depth=1
	s_or_b64 exec, exec, s[4:5]
	s_waitcnt vmcnt(0)
	v_add_f32_e32 v22, -1.0, v22
	v_fma_f32 v22, v22, s18, 1.0
	v_add_f32_e32 v38, -1.0, v22
	v_cmp_eq_f32_e64 s[4:5], 1.0, v38
	v_frexp_mant_f32_e64 v22, |v38|
	v_cndmask_b32_e64 v39, 2.0, 1.0, s[4:5]
	v_cmp_gt_f32_e64 s[4:5], s21, v22
	v_cndmask_b32_e64 v23, 1.0, 2.0, s[4:5]
	v_mul_f32_e32 v22, v22, v23
	v_add_f32_e32 v25, 1.0, v22
	v_rcp_f32_e32 v30, v25
	v_add_f32_e32 v23, -1.0, v25
	v_sub_f32_e32 v27, v22, v23
	v_add_f32_e32 v23, -1.0, v22
	v_mul_f32_e32 v31, v23, v30
	v_mul_f32_e32 v24, v25, v31
	v_fma_f32 v26, v31, v25, -v24
	v_fmac_f32_e32 v26, v31, v27
	v_add_f32_e32 v22, v24, v26
	v_sub_f32_e32 v25, v23, v22
	v_pk_add_f32 v[28:29], v[22:23], v[24:25] neg_lo:[0,1] neg_hi:[0,1]
	v_mov_b32_e32 v27, v22
	v_pk_add_f32 v[22:23], v[28:29], v[26:27] neg_lo:[0,1] neg_hi:[0,1]
	v_add_f32_e32 v22, v22, v23
	v_add_f32_e32 v22, v25, v22
	v_mul_f32_e32 v23, v30, v22
	v_add_f32_e32 v22, v31, v23
	v_sub_f32_e32 v24, v22, v31
	v_sub_f32_e32 v32, v23, v24
	v_mul_f32_e32 v23, v22, v22
	v_fma_f32 v25, v22, v22, -v23
	v_add_f32_e32 v24, v32, v32
	v_fmac_f32_e32 v25, v22, v24
	v_add_f32_e32 v24, v23, v25
	v_mov_b32_e32 v26, 0x3e91f4c4
	v_fmac_f32_e32 v26, 0x3e76c4e1, v24
	v_fma_f32 v26, v24, v26, v16
	v_sub_f32_e32 v23, v24, v23
	v_sub_f32_e32 v33, v25, v23
	v_mul_f32_e32 v23, v24, v26
	v_fma_f32 v25, v24, v26, -v23
	v_fmac_f32_e32 v25, v33, v26
	v_add_f32_e32 v26, v23, v25
	v_add_f32_e32 v27, 0x3f2aaaaa, v26
	v_sub_f32_e32 v23, v26, v23
	v_sub_f32_e32 v23, v25, v23
	v_add_f32_e32 v25, 0xbf2aaaaa, v27
	v_add_f32_e32 v23, 0x31739010, v23
	v_sub_f32_e32 v25, v26, v25
	v_pk_mul_f32 v[28:29], v[22:23], v[24:25]
	v_fma_f32 v26, v24, v22, -v28
	v_pk_add_f32 v[30:31], v[22:23], v[24:25]
	v_fmac_f32_e32 v26, v24, v32
	v_mov_b32_e32 v29, v31
	v_fmac_f32_e32 v26, v33, v22
	v_pk_add_f32 v[24:25], v[28:29], v[26:27]
	v_sub_f32_e32 v23, v24, v28
	v_sub_f32_e32 v23, v26, v23
	;; [unrolled: 1-line block ×3, first 2 shown]
	v_add_f32_e32 v30, v31, v26
	v_mov_b32_e32 v26, v25
	v_pk_mul_f32 v[26:27], v[24:25], v[26:27]
	v_cvt_f64_f32_e64 v[28:29], |v38|
	v_frexp_exp_i32_f64_e32 v27, v[28:29]
	v_subbrev_co_u32_e64 v27, s[4:5], 0, v27, s[4:5]
	v_cvt_f32_i32_e32 v27, v27
	v_fma_f32 v28, v24, v25, -v26
	v_fmac_f32_e32 v28, v24, v30
	v_fmac_f32_e32 v28, v23, v25
	v_mul_f32_e32 v24, 0x3f317218, v27
	v_fma_f32 v30, v27, s22, -v24
	v_fmac_f32_e32 v30, 0xb102e308, v27
	v_ldexp_f32 v31, v22, 1
	v_add_f32_e32 v25, v26, v28
	v_pk_add_f32 v[22:23], v[24:25], v[30:31]
	v_ldexp_f32 v34, v32, 1
	v_mov_b32_e32 v32, v25
	v_mov_b32_e32 v33, v23
	;; [unrolled: 1-line block ×3, first 2 shown]
	v_pk_add_f32 v[26:27], v[32:33], v[26:27] neg_lo:[0,1] neg_hi:[0,1]
	v_mov_b32_e32 v29, v25
	v_pk_add_f32 v[26:27], v[28:29], v[26:27] neg_lo:[0,1] neg_hi:[0,1]
	v_add_f32_e32 v25, v34, v26
	v_add_f32_e32 v25, v25, v27
	v_pk_add_f32 v[26:27], v[22:23], v[24:25] neg_lo:[0,1] neg_hi:[0,1]
	v_pk_add_f32 v[28:29], v[22:23], v[24:25]
	v_mov_b32_e32 v32, v26
	v_mov_b32_e32 v33, v29
	;; [unrolled: 1-line block ×3, first 2 shown]
	v_pk_add_f32 v[32:33], v[30:31], v[32:33]
	v_mov_b32_e32 v24, v33
	v_pk_add_f32 v[34:35], v[24:25], v[22:23] neg_lo:[0,1] neg_hi:[0,1]
	v_mov_b32_e32 v35, v34
	v_mov_b32_e32 v32, v29
	;; [unrolled: 1-line block ×4, first 2 shown]
	v_pk_add_f32 v[26:27], v[30:31], v[26:27] neg_lo:[0,1] neg_hi:[0,1]
	v_pk_add_f32 v[36:37], v[28:29], v[34:35] neg_lo:[0,1] neg_hi:[0,1]
	;; [unrolled: 1-line block ×3, first 2 shown]
	v_mov_b32_e32 v30, v25
	v_pk_add_f32 v[22:23], v[30:31], v[22:23] neg_lo:[0,1] neg_hi:[0,1]
	v_mov_b32_e32 v36, v26
	v_pk_add_f32 v[28:29], v[36:37], v[22:23]
	v_mov_b32_e32 v30, v29
	v_pk_add_f32 v[30:31], v[28:29], v[30:31]
	v_pk_add_f32 v[24:25], v[24:25], v[30:31]
	v_mov_b32_e32 v27, v33
	v_mov_b32_e32 v29, v24
	v_pk_add_f32 v[32:33], v[28:29], v[26:27] neg_lo:[0,1] neg_hi:[0,1]
	v_mov_b32_e32 v23, v30
	v_sub_f32_e32 v25, v28, v32
	v_pk_add_f32 v[22:23], v[22:23], v[32:33] neg_lo:[0,1] neg_hi:[0,1]
	v_sub_f32_e32 v25, v26, v25
	v_add_f32_e32 v22, v22, v25
	v_add_f32_e32 v22, v22, v23
	;; [unrolled: 1-line block ×3, first 2 shown]
	v_sub_f32_e32 v24, v23, v24
	v_sub_f32_e32 v22, v22, v24
	v_mul_f32_e32 v24, v39, v23
	v_fma_f32 v23, v39, v23, -v24
	v_fmac_f32_e32 v23, v39, v22
	v_add_f32_e32 v22, v24, v23
	v_cmp_class_f32_e64 s[4:5], v24, s23
	v_sub_f32_e32 v25, v22, v24
	v_cndmask_b32_e64 v22, v22, v24, s[4:5]
	v_cmp_eq_f32_e64 s[4:5], s24, v22
	v_cndmask_b32_e64 v24, 0, v12, s[4:5]
	v_sub_f32_e32 v23, v23, v25
	v_sub_f32_e32 v25, v22, v24
	v_mul_f32_e32 v26, 0x3fb8aa3b, v25
	v_fma_f32 v27, v25, s25, -v26
	v_rndne_f32_e32 v28, v26
	v_fmac_f32_e32 v27, 0x32a5705f, v25
	v_sub_f32_e32 v26, v26, v28
	v_add_f32_e32 v26, v26, v27
	v_exp_f32_e32 v26, v26
	v_cvt_i32_f32_e32 v27, v28
	v_cmp_neq_f32_e64 s[4:5], |v22|, s27
	v_cndmask_b32_e64 v22, 0, v23, s[4:5]
	v_cmp_ngt_f32_e64 s[4:5], s26, v25
	v_ldexp_f32 v23, v26, v27
	v_cndmask_b32_e64 v23, 0, v23, s[4:5]
	v_cmp_nlt_f32_e64 s[4:5], s24, v25
	v_add_f32_e32 v22, v24, v22
	v_cndmask_b32_e64 v23, v13, v23, s[4:5]
	v_fma_f32 v22, v23, v22, v23
	v_cmp_class_f32_e64 s[4:5], v23, s23
	v_cndmask_b32_e64 v22, v22, v23, s[4:5]
	v_trunc_f32_e32 v23, v39
	v_cmp_eq_f32_e64 s[4:5], v23, v39
	v_mul_f32_e32 v23, 0.5, v39
	v_trunc_f32_e32 v24, v23
	v_cmp_neq_f32_e64 s[6:7], v24, v23
	s_and_b64 s[6:7], s[4:5], s[6:7]
	v_cndmask_b32_e64 v23, 1.0, v38, s[6:7]
	v_bfi_b32 v22, s28, v22, v23
	v_cndmask_b32_e64 v23, v11, v22, s[4:5]
	v_cmp_gt_f32_e64 s[4:5], 0, v38
	v_cndmask_b32_e64 v22, v22, v23, s[4:5]
	v_cmp_eq_f32_e64 s[4:5], 0, v38
	v_cmp_class_f32_e64 s[8:9], v38, s23
	v_cndmask_b32_e64 v23, v13, 0, s[4:5]
	v_cndmask_b32_e64 v24, 0, v38, s[6:7]
	v_bfi_b32 v23, s28, v23, v24
	s_or_b64 s[4:5], s[4:5], s[8:9]
	v_cndmask_b32_e64 v22, v22, v23, s[4:5]
	v_cmp_o_f32_e64 s[4:5], v38, v38
	v_cndmask_b32_e64 v36, v11, v22, s[4:5]
	v_mul_f32_e32 v22, v21, v21
	v_mov_b32_e32 v23, 0x3c0881c4
	v_fmac_f32_e32 v23, 0xb94c1982, v22
	v_fma_f32 v23, v22, v23, v8
	v_mul_f32_e32 v23, v22, v23
	v_fmac_f32_e32 v21, v21, v23
	v_mov_b32_e32 v23, 0xbab64f3b
	v_fmac_f32_e32 v23, 0x37d75334, v22
	v_fma_f32 v23, v22, v23, v9
	v_fma_f32 v23, v22, v23, v10
	v_fma_f32 v22, v22, v23, 1.0
	v_and_b32_e32 v23, 1, v4
	v_lshlrev_b32_e32 v4, 30, v4
	v_cmp_eq_u32_e64 s[4:5], 0, v23
	v_and_b32_e32 v4, 0x80000000, v4
	v_xor_b32_e32 v20, v20, v19
	v_cndmask_b32_e64 v21, v22, v21, s[4:5]
	v_xor_b32_e32 v4, v20, v4
	v_xor_b32_e32 v4, v4, v21
	v_cmp_class_f32_e64 s[4:5], v19, s20
	v_cndmask_b32_e64 v39, v11, |v4|, s[4:5]
	v_cndmask_b32_e64 v37, v11, v4, s[4:5]
	v_frexp_mant_f32_e32 v4, v39
	v_cmp_gt_f32_e64 s[4:5], s21, v4
	v_cndmask_b32_e64 v19, 1.0, 2.0, s[4:5]
	v_mul_f32_e32 v4, v4, v19
	v_add_f32_e32 v19, 1.0, v4
	v_rcp_f32_e32 v28, v19
	v_add_f32_e32 v20, -1.0, v19
	v_add_f32_e32 v21, -1.0, v4
	v_sub_f32_e32 v20, v4, v20
	v_mul_f32_e32 v4, v21, v28
	v_mul_f32_e32 v22, v19, v4
	v_fma_f32 v24, v4, v19, -v22
	v_fmac_f32_e32 v24, v4, v20
	v_add_f32_e32 v20, v22, v24
	v_sub_f32_e32 v23, v21, v20
	v_pk_add_f32 v[26:27], v[20:21], v[22:23] neg_lo:[0,1] neg_hi:[0,1]
	v_mov_b32_e32 v25, v20
	v_pk_add_f32 v[20:21], v[26:27], v[24:25] neg_lo:[0,1] neg_hi:[0,1]
	v_add_f32_e32 v19, v20, v21
	v_add_f32_e32 v19, v23, v19
	v_mul_f32_e32 v19, v28, v19
	v_add_f32_e32 v20, v4, v19
	v_sub_f32_e32 v4, v20, v4
	v_sub_f32_e32 v19, v19, v4
	v_mul_f32_e32 v4, v20, v20
	v_fma_f32 v21, v20, v20, -v4
	v_add_f32_e32 v22, v19, v19
	v_fmac_f32_e32 v21, v20, v22
	v_add_f32_e32 v22, v4, v21
	v_mov_b32_e32 v23, 0x3e91f4c4
	v_fmac_f32_e32 v23, 0x3e76c4e1, v22
	v_fma_f32 v23, v22, v23, v16
	v_sub_f32_e32 v4, v22, v4
	v_sub_f32_e32 v4, v21, v4
	v_mul_f32_e32 v21, v22, v23
	v_fma_f32 v24, v22, v23, -v21
	v_fmac_f32_e32 v24, v4, v23
	v_add_f32_e32 v23, v21, v24
	v_add_f32_e32 v25, 0x3f2aaaaa, v23
	v_sub_f32_e32 v21, v23, v21
	v_sub_f32_e32 v21, v24, v21
	v_add_f32_e32 v24, 0xbf2aaaaa, v25
	v_add_f32_e32 v21, 0x31739010, v21
	v_sub_f32_e32 v23, v23, v24
	v_pk_mul_f32 v[26:27], v[20:21], v[22:23]
	v_fma_f32 v24, v22, v20, -v26
	v_pk_add_f32 v[28:29], v[20:21], v[22:23]
	v_fmac_f32_e32 v24, v22, v19
	v_mov_b32_e32 v27, v29
	v_fmac_f32_e32 v24, v4, v20
	v_pk_add_f32 v[22:23], v[26:27], v[24:25]
	v_sub_f32_e32 v4, v22, v26
	v_sub_f32_e32 v21, v24, v4
	;; [unrolled: 1-line block ×3, first 2 shown]
	v_add_f32_e32 v28, v29, v4
	v_mov_b32_e32 v4, v23
	v_cvt_f64_f32_e32 v[26:27], v39
	v_pk_mul_f32 v[24:25], v[22:23], v[4:5]
	v_frexp_exp_i32_f64_e32 v4, v[26:27]
	v_subbrev_co_u32_e64 v4, s[4:5], 0, v4, s[4:5]
	v_cvt_f32_i32_e32 v4, v4
	v_fma_f32 v26, v22, v23, -v24
	v_fmac_f32_e32 v26, v22, v28
	v_fmac_f32_e32 v26, v21, v23
	v_mul_f32_e32 v22, 0x3f317218, v4
	v_fma_f32 v28, v4, s22, -v22
	v_fmac_f32_e32 v28, 0xb102e308, v4
	v_ldexp_f32 v29, v20, 1
	v_add_f32_e32 v23, v24, v26
	v_pk_add_f32 v[20:21], v[22:23], v[28:29]
	v_mov_b32_e32 v30, v23
	v_mov_b32_e32 v31, v21
	;; [unrolled: 1-line block ×3, first 2 shown]
	v_pk_add_f32 v[24:25], v[30:31], v[24:25] neg_lo:[0,1] neg_hi:[0,1]
	v_mov_b32_e32 v27, v23
	v_ldexp_f32 v4, v19, 1
	v_pk_add_f32 v[24:25], v[26:27], v[24:25] neg_lo:[0,1] neg_hi:[0,1]
	v_add_f32_e32 v4, v4, v24
	v_add_f32_e32 v23, v4, v25
	v_pk_add_f32 v[24:25], v[20:21], v[22:23] neg_lo:[0,1] neg_hi:[0,1]
	v_pk_add_f32 v[26:27], v[20:21], v[22:23]
	v_mov_b32_e32 v30, v24
	v_mov_b32_e32 v31, v27
	;; [unrolled: 1-line block ×3, first 2 shown]
	v_pk_add_f32 v[30:31], v[28:29], v[30:31]
	v_mov_b32_e32 v4, v31
	v_pk_add_f32 v[32:33], v[4:5], v[20:21] neg_lo:[0,1] neg_hi:[0,1]
	v_mov_b32_e32 v19, v32
	v_mov_b32_e32 v30, v27
	;; [unrolled: 1-line block ×4, first 2 shown]
	v_pk_add_f32 v[24:25], v[28:29], v[24:25] neg_lo:[0,1] neg_hi:[0,1]
	v_pk_add_f32 v[34:35], v[26:27], v[18:19] neg_lo:[0,1] neg_hi:[0,1]
	;; [unrolled: 1-line block ×3, first 2 shown]
	v_mov_b32_e32 v28, v23
	v_pk_add_f32 v[20:21], v[28:29], v[20:21] neg_lo:[0,1] neg_hi:[0,1]
	v_mov_b32_e32 v34, v24
	v_pk_add_f32 v[22:23], v[34:35], v[20:21]
	v_mov_b32_e32 v26, v23
	v_pk_add_f32 v[26:27], v[22:23], v[26:27]
	v_pk_add_f32 v[28:29], v[4:5], v[26:27]
	v_mov_b32_e32 v25, v31
	v_mov_b32_e32 v23, v28
	v_pk_add_f32 v[30:31], v[22:23], v[24:25] neg_lo:[0,1] neg_hi:[0,1]
	v_mov_b32_e32 v21, v26
	v_sub_f32_e32 v4, v22, v30
	v_pk_add_f32 v[20:21], v[20:21], v[30:31] neg_lo:[0,1] neg_hi:[0,1]
	v_sub_f32_e32 v4, v24, v4
	v_add_f32_e32 v4, v20, v4
	v_add_f32_e32 v4, v4, v21
	v_cmp_eq_f32_e64 s[6:7], 1.0, v37
	v_add_f32_e32 v19, v28, v4
	v_cndmask_b32_e64 v38, 2.0, 1.0, s[6:7]
	v_sub_f32_e32 v20, v19, v28
	v_sub_f32_e32 v4, v4, v20
	v_mul_f32_e32 v20, v38, v19
	v_fma_f32 v19, v38, v19, -v20
	v_fmac_f32_e32 v19, v38, v4
	v_add_f32_e32 v4, v20, v19
	v_cmp_class_f32_e64 s[4:5], v20, s23
	v_sub_f32_e32 v21, v4, v20
	v_cndmask_b32_e64 v4, v4, v20, s[4:5]
	v_cmp_eq_f32_e64 s[4:5], s24, v4
	v_cndmask_b32_e64 v20, 0, v12, s[4:5]
	v_sub_f32_e32 v19, v19, v21
	v_sub_f32_e32 v21, v4, v20
	v_mul_f32_e32 v22, 0x3fb8aa3b, v21
	v_fma_f32 v23, v21, s25, -v22
	v_rndne_f32_e32 v24, v22
	v_fmac_f32_e32 v23, 0x32a5705f, v21
	v_sub_f32_e32 v22, v22, v24
	v_add_f32_e32 v22, v22, v23
	v_exp_f32_e32 v22, v22
	v_cvt_i32_f32_e32 v23, v24
	v_cmp_neq_f32_e64 s[4:5], |v4|, s27
	v_cndmask_b32_e64 v4, 0, v19, s[4:5]
	v_cmp_ngt_f32_e64 s[4:5], s26, v21
	v_ldexp_f32 v19, v22, v23
	v_cndmask_b32_e64 v19, 0, v19, s[4:5]
	v_cmp_nlt_f32_e64 s[4:5], s24, v21
	v_add_f32_e32 v4, v20, v4
	v_cndmask_b32_e64 v19, v13, v19, s[4:5]
	v_fma_f32 v4, v19, v4, v19
	v_cmp_class_f32_e64 s[4:5], v19, s23
	v_cndmask_b32_e64 v4, v4, v19, s[4:5]
	v_trunc_f32_e32 v19, v38
	v_cmp_eq_f32_e64 s[4:5], v19, v38
	v_mul_f32_e32 v19, 0.5, v38
	v_trunc_f32_e32 v20, v19
	v_cmp_neq_f32_e64 s[6:7], v20, v19
	s_and_b64 s[6:7], s[4:5], s[6:7]
	v_cndmask_b32_e64 v19, 1.0, v37, s[6:7]
	v_bfi_b32 v4, s28, v4, v19
	v_cndmask_b32_e64 v19, v11, v4, s[4:5]
	v_cmp_gt_f32_e64 s[4:5], 0, v37
	v_cmp_eq_f32_e64 s[8:9], 0, v37
	v_cndmask_b32_e64 v4, v4, v19, s[4:5]
	v_cmp_eq_f32_e64 s[4:5], s27, v39
	v_cndmask_b32_e64 v19, v13, 0, s[8:9]
	v_cndmask_b32_e64 v20, 0, v37, s[6:7]
	v_bfi_b32 v19, s28, v19, v20
	s_or_b64 s[4:5], s[8:9], s[4:5]
	v_cndmask_b32_e64 v4, v4, v19, s[4:5]
	v_fma_f32 v4, v4, s41, 1.0
	v_cmp_o_f32_e64 s[4:5], v37, v37
	v_cndmask_b32_e64 v4, v11, v4, s[4:5]
	s_add_i32 s19, s19, 4
	s_cmpk_lg_i32 s19, 0x74
	v_fmac_f32_e32 v14, v36, v4
	s_cbranch_scc0 .LBB1_21
.LBB1_17:                               ; =>This Inner Loop Header: Depth=1
	v_add_u32_e32 v4, s19, v15
	buffer_load_dword v19, v4, s[0:3], 0 offen offset:4
	buffer_load_dword v22, v4, s[0:3], 0 offen
                                        ; implicit-def: $vgpr21
	s_waitcnt vmcnt(1)
	v_add_f32_e32 v4, -1.0, v19
	v_fma_f32 v4, v4, s18, 1.0
	v_mul_f32_e32 v19, 0x40490e56, v4
	v_and_b32_e32 v20, 0x7fffffff, v19
	v_cmp_nlt_f32_e64 s[4:5], |v19|, s29
                                        ; implicit-def: $vgpr4
	s_and_saveexec_b64 s[6:7], s[4:5]
	s_xor_b64 s[12:13], exec, s[6:7]
	s_cbranch_execz .LBB1_19
; %bb.18:                               ;   in Loop: Header=BB1_17 Depth=1
	v_lshrrev_b32_e32 v4, 23, v20
	v_add_u32_e32 v4, 0xffffff88, v4
	v_cmp_lt_u32_e64 s[4:5], 63, v4
	v_cndmask_b32_e64 v21, 0, v17, s[4:5]
	v_add_u32_e32 v4, v21, v4
	v_cmp_lt_u32_e64 s[6:7], 31, v4
	v_cndmask_b32_e64 v21, 0, v18, s[6:7]
	;; [unrolled: 3-line block ×3, first 2 shown]
	v_add_u32_e32 v21, v21, v4
	v_and_b32_e32 v4, 0x7fffff, v20
	v_or_b32_e32 v23, 0x800000, v4
	v_mad_u64_u32 v[24:25], s[10:11], v23, s30, 0
	v_mov_b32_e32 v4, v25
	v_mad_u64_u32 v[26:27], s[10:11], v23, s31, v[4:5]
	v_mov_b32_e32 v4, v27
	;; [unrolled: 2-line block ×6, first 2 shown]
	v_mad_u64_u32 v[36:37], s[10:11], v23, s37, v[4:5]
	v_cndmask_b32_e64 v25, v34, v30, s[4:5]
	v_cndmask_b32_e64 v4, v36, v32, s[4:5]
	;; [unrolled: 1-line block ×7, first 2 shown]
	v_sub_u32_e32 v29, 32, v21
	v_cmp_eq_u32_e64 s[10:11], 0, v21
	v_cndmask_b32_e64 v21, v30, v26, s[4:5]
	v_cndmask_b32_e64 v4, v4, v23, s[8:9]
	v_cndmask_b32_e64 v23, v23, v25, s[8:9]
	v_cndmask_b32_e64 v26, v27, v21, s[6:7]
	v_alignbit_b32 v31, v4, v23, v29
	v_cndmask_b32_e64 v25, v25, v26, s[8:9]
	v_cndmask_b32_e64 v4, v31, v4, s[10:11]
	v_alignbit_b32 v27, v23, v25, v29
	v_cndmask_b32_e64 v24, v28, v24, s[4:5]
	v_cndmask_b32_e64 v23, v27, v23, s[10:11]
	v_bfe_u32 v31, v4, 29, 1
	v_cndmask_b32_e64 v21, v21, v24, s[6:7]
	v_alignbit_b32 v27, v4, v23, 30
	v_sub_u32_e32 v32, 0, v31
	v_cndmask_b32_e64 v21, v26, v21, s[8:9]
	v_xor_b32_e32 v33, v27, v32
	v_alignbit_b32 v24, v25, v21, v29
	v_cndmask_b32_e64 v24, v24, v25, s[10:11]
	v_ffbh_u32_e32 v25, v33
	v_add_u32_e32 v25, 1, v25
	v_cmp_ne_u32_e64 s[4:5], v27, v32
	v_alignbit_b32 v23, v23, v24, 30
	v_cndmask_b32_e64 v25, 33, v25, s[4:5]
	v_alignbit_b32 v21, v24, v21, 30
	v_xor_b32_e32 v23, v23, v32
	v_sub_u32_e32 v26, 32, v25
	v_xor_b32_e32 v21, v21, v32
	v_alignbit_b32 v27, v33, v23, v26
	v_alignbit_b32 v21, v23, v21, v26
	;; [unrolled: 1-line block ×3, first 2 shown]
	v_ffbh_u32_e32 v24, v23
	v_min_u32_e32 v24, 32, v24
	v_lshrrev_b32_e32 v30, 29, v4
	v_sub_u32_e32 v26, 31, v24
	v_alignbit_b32 v21, v23, v21, v26
	v_lshlrev_b32_e32 v23, 31, v30
	v_or_b32_e32 v26, 0x33800000, v23
	v_add_lshl_u32 v24, v24, v25, 23
	v_lshrrev_b32_e32 v21, 9, v21
	v_sub_u32_e32 v24, v26, v24
	v_or_b32_e32 v21, v24, v21
	v_alignbit_b32 v24, v25, v27, 9
	v_or_b32_e32 v23, v24, v23
	v_xor_b32_e32 v23, 1.0, v23
	v_mul_f32_e32 v24, 0x3fc90fda, v23
	v_fma_f32 v25, v23, s38, -v24
	v_fmac_f32_e32 v25, 0x33a22168, v23
	v_fmac_f32_e32 v25, 0x3fc90fda, v21
	v_lshrrev_b32_e32 v4, 30, v4
	v_add_f32_e32 v21, v24, v25
	v_add_u32_e32 v4, v31, v4
.LBB1_19:                               ;   in Loop: Header=BB1_17 Depth=1
	s_andn2_saveexec_b64 s[4:5], s[12:13]
	s_cbranch_execz .LBB1_16
; %bb.20:                               ;   in Loop: Header=BB1_17 Depth=1
	v_mul_f32_e64 v4, |v19|, s39
	v_rndne_f32_e32 v23, v4
	v_cvt_i32_f32_e32 v4, v23
	v_fma_f32 v21, v23, s40, |v19|
	v_fmac_f32_e32 v21, 0xb3a22168, v23
	v_fmac_f32_e32 v21, 0xa7c234c4, v23
	s_branch .LBB1_16
.LBB1_21:
	v_cmp_lt_f32_e64 s[4:5], v3, v14
	s_and_b64 exec, exec, s[4:5]
	s_cbranch_execz .LBB1_212
; %bb.22:
	buffer_load_dword v8, off, s[0:3], 0
	buffer_load_dword v9, off, s[0:3], 0 offset:4
	buffer_load_dword v10, off, s[0:3], 0 offset:8
	;; [unrolled: 1-line block ×29, first 2 shown]
	s_waitcnt vmcnt(26)
	global_store_dwordx4 v[0:1], v[8:11], off
	s_waitcnt vmcnt(23)
	global_store_dwordx4 v[0:1], v[12:15], off offset:16
	s_waitcnt vmcnt(20)
	global_store_dwordx4 v[0:1], v[16:19], off offset:32
	s_waitcnt vmcnt(17)
	global_store_dwordx4 v[0:1], v[20:23], off offset:48
	s_waitcnt vmcnt(10)
	global_store_dwordx4 v[0:1], v[28:31], off offset:64
	global_store_dwordx4 v[0:1], v[24:27], off offset:80
	s_waitcnt vmcnt(8)
	global_store_dwordx4 v[0:1], v[32:35], off offset:96
	s_waitcnt vmcnt(7)
	global_store_dwordx2 v[0:1], v[4:5], off offset:112
                                        ; implicit-def: $vgpr0
                                        ; implicit-def: $vgpr1
	s_and_saveexec_b64 s[4:5], s[16:17]
	s_xor_b64 s[12:13], exec, s[4:5]
	s_cbranch_execz .LBB1_24
; %bb.23:
	v_lshrrev_b32_e32 v0, 23, v7
	v_add_u32_e32 v0, 0xffffff88, v0
	v_not_b32_e32 v3, 63
	v_cmp_lt_u32_e64 s[4:5], 63, v0
	v_cndmask_b32_e64 v3, 0, v3, s[4:5]
	v_add_u32_e32 v0, v3, v0
	v_not_b32_e32 v3, 31
	v_cmp_lt_u32_e64 s[6:7], 31, v0
	v_cndmask_b32_e64 v4, 0, v3, s[6:7]
	v_add_u32_e32 v0, v4, v0
	v_cmp_lt_u32_e64 s[8:9], 31, v0
	v_cndmask_b32_e64 v3, 0, v3, s[8:9]
	v_add_u32_e32 v3, v3, v0
	v_and_b32_e32 v0, 0x7fffff, v7
	v_or_b32_e32 v18, 0x800000, v0
	s_mov_b32 s10, 0xfe5163ab
	v_mad_u64_u32 v[4:5], s[10:11], v18, s10, 0
	v_mov_b32_e32 v1, 0
	v_mov_b32_e32 v0, v5
	s_mov_b32 s10, 0x3c439041
	v_mad_u64_u32 v[8:9], s[10:11], v18, s10, v[0:1]
	v_mov_b32_e32 v0, v9
	s_mov_b32 s10, 0xdb629599
	v_mad_u64_u32 v[10:11], s[10:11], v18, s10, v[0:1]
	;; [unrolled: 3-line block ×6, first 2 shown]
	v_cndmask_b32_e64 v5, v16, v12, s[4:5]
	v_cndmask_b32_e64 v0, v0, v14, s[4:5]
	v_cndmask_b32_e64 v1, v1, v16, s[4:5]
	v_cndmask_b32_e64 v9, v0, v5, s[6:7]
	v_cndmask_b32_e64 v0, v1, v0, s[6:7]
	v_cndmask_b32_e64 v1, v14, v10, s[4:5]
	v_cndmask_b32_e64 v5, v5, v1, s[6:7]
	v_sub_u32_e32 v11, 32, v3
	v_cmp_eq_u32_e64 s[10:11], 0, v3
	v_cndmask_b32_e64 v3, v12, v8, s[4:5]
	v_cndmask_b32_e64 v0, v0, v9, s[8:9]
	;; [unrolled: 1-line block ×4, first 2 shown]
	v_alignbit_b32 v13, v0, v9, v11
	v_cndmask_b32_e64 v5, v5, v1, s[8:9]
	v_cndmask_b32_e64 v0, v13, v0, s[10:11]
	v_alignbit_b32 v8, v9, v5, v11
	v_cndmask_b32_e64 v4, v10, v4, s[4:5]
	v_cndmask_b32_e64 v8, v8, v9, s[10:11]
	v_bfe_u32 v13, v0, 29, 1
	v_cndmask_b32_e64 v3, v3, v4, s[6:7]
	v_alignbit_b32 v9, v0, v8, 30
	v_sub_u32_e32 v14, 0, v13
	v_cndmask_b32_e64 v1, v1, v3, s[8:9]
	v_xor_b32_e32 v15, v9, v14
	v_alignbit_b32 v3, v5, v1, v11
	v_cndmask_b32_e64 v3, v3, v5, s[10:11]
	v_ffbh_u32_e32 v5, v15
	v_add_u32_e32 v5, 1, v5
	v_cmp_ne_u32_e64 s[4:5], v9, v14
	v_alignbit_b32 v4, v8, v3, 30
	v_cndmask_b32_e64 v5, 33, v5, s[4:5]
	v_alignbit_b32 v1, v3, v1, 30
	v_xor_b32_e32 v4, v4, v14
	v_sub_u32_e32 v8, 32, v5
	v_xor_b32_e32 v1, v1, v14
	v_alignbit_b32 v9, v15, v4, v8
	v_alignbit_b32 v1, v4, v1, v8
	;; [unrolled: 1-line block ×3, first 2 shown]
	v_ffbh_u32_e32 v4, v3
	v_min_u32_e32 v4, 32, v4
	v_lshrrev_b32_e32 v12, 29, v0
	v_sub_u32_e32 v8, 31, v4
	v_alignbit_b32 v1, v3, v1, v8
	v_lshlrev_b32_e32 v3, 31, v12
	v_or_b32_e32 v8, 0x33800000, v3
	v_add_lshl_u32 v4, v4, v5, 23
	v_lshrrev_b32_e32 v1, 9, v1
	v_sub_u32_e32 v4, v8, v4
	v_or_b32_e32 v1, v4, v1
	v_alignbit_b32 v4, v5, v9, 9
	v_or_b32_e32 v3, v4, v3
	v_xor_b32_e32 v3, 1.0, v3
	s_mov_b32 s4, 0x3fc90fda
	v_mul_f32_e32 v4, 0x3fc90fda, v3
	v_fma_f32 v5, v3, s4, -v4
	v_fmac_f32_e32 v5, 0x33a22168, v3
	v_fmac_f32_e32 v5, 0x3fc90fda, v1
	v_lshrrev_b32_e32 v0, 30, v0
	v_add_f32_e32 v1, v4, v5
	v_add_u32_e32 v0, v13, v0
.LBB1_24:
	s_andn2_saveexec_b64 s[4:5], s[12:13]
; %bb.25:
	s_mov_b32 s6, 0x3f22f983
	v_mul_f32_e64 v0, |v6|, s6
	v_rndne_f32_e32 v3, v0
	s_mov_b32 s6, 0xbfc90fda
	v_cvt_i32_f32_e32 v0, v3
	v_fma_f32 v1, v3, s6, |v6|
	v_fmac_f32_e32 v1, 0xb3a22168, v3
	v_fmac_f32_e32 v1, 0xa7c234c4, v3
; %bb.26:
	s_or_b64 exec, exec, s[4:5]
	v_mul_f32_e32 v8, v1, v1
	v_mov_b32_e32 v4, 0x3c0881c4
	v_fmac_f32_e32 v4, 0xb94c1982, v8
	v_mov_b32_e32 v3, 0xbe2aaa9d
	v_fma_f32 v4, v8, v4, v3
	v_mul_f32_e32 v4, v8, v4
	v_mov_b32_e32 v5, 0xbab64f3b
	v_fmac_f32_e32 v1, v1, v4
	v_fmac_f32_e32 v5, 0x37d75334, v8
	v_mov_b32_e32 v4, 0x3d2aabf7
	v_fma_f32 v9, v8, v5, v4
	v_mov_b32_e32 v5, 0xbf000004
	v_fma_f32 v9, v8, v9, v5
	v_fma_f32 v8, v8, v9, 1.0
	v_and_b32_e32 v9, 1, v0
	v_lshlrev_b32_e32 v0, 30, v0
	v_cmp_eq_u32_e64 s[4:5], 0, v9
	v_and_b32_e32 v0, 0x80000000, v0
	v_cndmask_b32_e64 v1, v8, v1, s[4:5]
	v_xor_b32_e32 v0, v7, v0
	v_xor_b32_e32 v0, v0, v1
	;; [unrolled: 1-line block ×3, first 2 shown]
	v_mov_b32_e32 v6, 0x7fc00000
	v_cndmask_b32_e64 v24, v6, |v0|, vcc
	v_cndmask_b32_e32 v22, v6, v0, vcc
	v_frexp_mant_f32_e32 v0, v24
	s_mov_b32 s13, 0x3f2aaaab
	v_cmp_gt_f32_e32 vcc, s13, v0
	v_cndmask_b32_e64 v1, 1.0, 2.0, vcc
	v_mul_f32_e32 v0, v0, v1
	v_add_f32_e32 v7, 1.0, v0
	v_rcp_f32_e32 v14, v7
	v_add_f32_e32 v1, -1.0, v7
	v_sub_f32_e32 v9, v0, v1
	v_add_f32_e32 v1, -1.0, v0
	v_mul_f32_e32 v15, v1, v14
	v_mul_f32_e32 v8, v7, v15
	v_fma_f32 v10, v15, v7, -v8
	v_fmac_f32_e32 v10, v15, v9
	v_add_f32_e32 v0, v8, v10
	v_sub_f32_e32 v9, v1, v0
	v_pk_add_f32 v[12:13], v[0:1], v[8:9] neg_lo:[0,1] neg_hi:[0,1]
	v_mov_b32_e32 v11, v0
	v_pk_add_f32 v[0:1], v[12:13], v[10:11] neg_lo:[0,1] neg_hi:[0,1]
	v_add_f32_e32 v0, v0, v1
	v_add_f32_e32 v0, v9, v0
	v_mul_f32_e32 v1, v14, v0
	v_add_f32_e32 v0, v15, v1
	v_sub_f32_e32 v7, v0, v15
	v_sub_f32_e32 v16, v1, v7
	v_mul_f32_e32 v1, v0, v0
	v_fma_f32 v9, v0, v0, -v1
	v_add_f32_e32 v7, v16, v16
	v_fmac_f32_e32 v9, v0, v7
	v_add_f32_e32 v8, v1, v9
	v_mov_b32_e32 v10, 0x3e91f4c4
	v_fmac_f32_e32 v10, 0x3e76c4e1, v8
	v_mov_b32_e32 v7, 0x3ecccdef
	v_fma_f32 v10, v8, v10, v7
	v_sub_f32_e32 v1, v8, v1
	v_sub_f32_e32 v17, v9, v1
	v_mul_f32_e32 v1, v8, v10
	v_fma_f32 v9, v8, v10, -v1
	v_fmac_f32_e32 v9, v17, v10
	v_add_f32_e32 v10, v1, v9
	v_add_f32_e32 v11, 0x3f2aaaaa, v10
	v_sub_f32_e32 v1, v10, v1
	v_sub_f32_e32 v1, v9, v1
	v_add_f32_e32 v9, 0xbf2aaaaa, v11
	v_add_f32_e32 v1, 0x31739010, v1
	v_sub_f32_e32 v9, v10, v9
	v_pk_mul_f32 v[12:13], v[0:1], v[8:9]
	v_fma_f32 v10, v8, v0, -v12
	v_pk_add_f32 v[14:15], v[0:1], v[8:9]
	v_fmac_f32_e32 v10, v8, v16
	v_mov_b32_e32 v13, v15
	v_fmac_f32_e32 v10, v17, v0
	v_pk_add_f32 v[8:9], v[12:13], v[10:11]
	v_sub_f32_e32 v1, v8, v12
	v_sub_f32_e32 v1, v10, v1
	;; [unrolled: 1-line block ×3, first 2 shown]
	v_add_f32_e32 v13, v15, v10
	v_mov_b32_e32 v10, v9
	v_pk_mul_f32 v[10:11], v[8:9], v[10:11]
	v_cvt_f64_f32_e32 v[14:15], v24
	v_frexp_exp_i32_f64_e32 v11, v[14:15]
	v_subbrev_co_u32_e32 v11, vcc, 0, v11, vcc
	v_cvt_f32_i32_e32 v11, v11
	v_fma_f32 v12, v8, v9, -v10
	v_fmac_f32_e32 v12, v8, v13
	s_mov_b32 s16, 0x3f317218
	v_mul_f32_e32 v8, 0x3f317218, v11
	v_fmac_f32_e32 v12, v1, v9
	v_fma_f32 v14, v11, s16, -v8
	v_fmac_f32_e32 v14, 0xb102e308, v11
	v_ldexp_f32 v15, v0, 1
	v_add_f32_e32 v9, v10, v12
	v_pk_add_f32 v[0:1], v[8:9], v[14:15]
	v_ldexp_f32 v18, v16, 1
	v_mov_b32_e32 v16, v9
	v_mov_b32_e32 v17, v1
	;; [unrolled: 1-line block ×3, first 2 shown]
	v_pk_add_f32 v[10:11], v[16:17], v[10:11] neg_lo:[0,1] neg_hi:[0,1]
	v_mov_b32_e32 v13, v9
	v_pk_add_f32 v[10:11], v[12:13], v[10:11] neg_lo:[0,1] neg_hi:[0,1]
	v_add_f32_e32 v9, v18, v10
	v_add_f32_e32 v9, v9, v11
	v_pk_add_f32 v[10:11], v[0:1], v[8:9] neg_lo:[0,1] neg_hi:[0,1]
	v_pk_add_f32 v[12:13], v[0:1], v[8:9]
	v_mov_b32_e32 v16, v10
	v_mov_b32_e32 v17, v13
	;; [unrolled: 1-line block ×3, first 2 shown]
	v_pk_add_f32 v[16:17], v[14:15], v[16:17]
	v_mov_b32_e32 v8, v17
	v_pk_add_f32 v[18:19], v[8:9], v[0:1] neg_lo:[0,1] neg_hi:[0,1]
	v_mov_b32_e32 v19, v18
	v_mov_b32_e32 v16, v13
	;; [unrolled: 1-line block ×4, first 2 shown]
	v_pk_add_f32 v[10:11], v[14:15], v[10:11] neg_lo:[0,1] neg_hi:[0,1]
	v_pk_add_f32 v[20:21], v[12:13], v[18:19] neg_lo:[0,1] neg_hi:[0,1]
	;; [unrolled: 1-line block ×3, first 2 shown]
	v_mov_b32_e32 v14, v9
	v_pk_add_f32 v[0:1], v[14:15], v[0:1] neg_lo:[0,1] neg_hi:[0,1]
	v_mov_b32_e32 v20, v10
	v_pk_add_f32 v[12:13], v[20:21], v[0:1]
	v_mov_b32_e32 v14, v13
	v_pk_add_f32 v[14:15], v[12:13], v[14:15]
	v_pk_add_f32 v[8:9], v[8:9], v[14:15]
	v_mov_b32_e32 v11, v17
	v_mov_b32_e32 v13, v8
	v_pk_add_f32 v[16:17], v[12:13], v[10:11] neg_lo:[0,1] neg_hi:[0,1]
	v_mov_b32_e32 v1, v14
	v_sub_f32_e32 v9, v12, v16
	v_pk_add_f32 v[0:1], v[0:1], v[16:17] neg_lo:[0,1] neg_hi:[0,1]
	v_sub_f32_e32 v9, v10, v9
	v_add_f32_e32 v0, v0, v9
	v_add_f32_e32 v0, v0, v1
	v_cmp_eq_f32_e64 s[4:5], 1.0, v22
	v_add_f32_e32 v1, v8, v0
	v_cndmask_b32_e64 v23, 2.0, 1.0, s[4:5]
	v_sub_f32_e32 v8, v1, v8
	v_sub_f32_e32 v0, v0, v8
	v_mul_f32_e32 v8, v23, v1
	v_fma_f32 v1, v23, v1, -v8
	v_fmac_f32_e32 v1, v23, v0
	s_movk_i32 s17, 0x204
	v_add_f32_e32 v0, v8, v1
	v_cmp_class_f32_e64 vcc, v8, s17
	v_sub_f32_e32 v9, v0, v8
	v_cndmask_b32_e32 v0, v0, v8, vcc
	s_mov_b32 s19, 0x42b17218
	v_mov_b32_e32 v8, 0x37000000
	v_cmp_eq_f32_e32 vcc, s19, v0
	v_sub_f32_e32 v1, v1, v9
	v_cndmask_b32_e32 v9, 0, v8, vcc
	v_sub_f32_e32 v10, v0, v9
	s_mov_b32 s20, 0x3fb8aa3b
	v_mul_f32_e32 v11, 0x3fb8aa3b, v10
	v_fma_f32 v12, v10, s20, -v11
	v_rndne_f32_e32 v13, v11
	v_fmac_f32_e32 v12, 0x32a5705f, v10
	v_sub_f32_e32 v11, v11, v13
	v_add_f32_e32 v11, v11, v12
	v_exp_f32_e32 v11, v11
	v_cvt_i32_f32_e32 v12, v13
	s_mov_b32 s18, 0x7f800000
	v_cmp_neq_f32_e64 vcc, |v0|, s18
	s_mov_b32 s21, 0xc2ce8ed0
	v_cndmask_b32_e32 v0, 0, v1, vcc
	v_ldexp_f32 v1, v11, v12
	v_cmp_ngt_f32_e32 vcc, s21, v10
	v_add_f32_e32 v0, v9, v0
	v_cndmask_b32_e32 v1, 0, v1, vcc
	v_mov_b32_e32 v9, 0x7f800000
	v_cmp_nlt_f32_e32 vcc, s19, v10
	v_cndmask_b32_e32 v1, v9, v1, vcc
	v_fma_f32 v0, v1, v0, v1
	v_cmp_class_f32_e64 vcc, v1, s17
	v_cndmask_b32_e32 v0, v0, v1, vcc
	v_trunc_f32_e32 v1, v23
	v_cmp_eq_f32_e32 vcc, v1, v23
	v_mul_f32_e32 v1, 0.5, v23
	v_trunc_f32_e32 v10, v1
	v_cmp_neq_f32_e64 s[4:5], v10, v1
	s_and_b64 s[4:5], vcc, s[4:5]
	v_cndmask_b32_e64 v1, 1.0, v22, s[4:5]
	s_brev_b32 s22, -2
	v_bfi_b32 v0, s22, v0, v1
	v_cndmask_b32_e32 v1, v6, v0, vcc
	v_cmp_gt_f32_e32 vcc, 0, v22
	v_cmp_eq_f32_e64 s[6:7], 0, v22
	v_cndmask_b32_e32 v0, v0, v1, vcc
	v_cmp_eq_f32_e32 vcc, s18, v24
	v_cndmask_b32_e64 v1, v9, 0, s[6:7]
	v_cndmask_b32_e64 v10, 0, v22, s[4:5]
	v_bfi_b32 v1, s22, v1, v10
	s_or_b64 vcc, s[6:7], vcc
	v_cndmask_b32_e32 v0, v0, v1, vcc
	v_cmp_o_f32_e32 vcc, v22, v22
	v_cndmask_b32_e32 v0, v6, v0, vcc
	s_mov_b32 s12, 0
	v_add_f32_e32 v2, v2, v0
	v_mov_b32_e32 v10, 0
	s_mov_b32 s23, 0x3e800000
	s_brev_b32 s24, 18
	s_mov_b32 s25, 0xfe5163ab
	s_mov_b32 s26, 0x3c439041
	;; [unrolled: 1-line block ×10, first 2 shown]
	s_movk_i32 s36, 0x1f8
	s_mov_b32 s37, 0x41200000
	v_mov_b32_e32 v1, 0
	v_not_b32_e32 v11, 63
	v_not_b32_e32 v12, 31
	s_branch .LBB1_28
.LBB1_27:                               ;   in Loop: Header=BB1_28 Depth=1
	s_or_b64 exec, exec, s[4:5]
	s_waitcnt vmcnt(0)
	v_add_f32_e32 v16, -1.0, v16
	v_fma_f32 v16, v16, s23, 1.0
	v_add_f32_e32 v32, -1.0, v16
	v_cmp_eq_f32_e32 vcc, 1.0, v32
	v_frexp_mant_f32_e64 v16, |v32|
	v_cndmask_b32_e64 v33, 2.0, 1.0, vcc
	v_cmp_gt_f32_e32 vcc, s13, v16
	v_cndmask_b32_e64 v17, 1.0, 2.0, vcc
	v_mul_f32_e32 v16, v16, v17
	v_add_f32_e32 v19, 1.0, v16
	v_rcp_f32_e32 v24, v19
	v_add_f32_e32 v17, -1.0, v19
	v_sub_f32_e32 v21, v16, v17
	v_add_f32_e32 v17, -1.0, v16
	v_mul_f32_e32 v25, v17, v24
	v_mul_f32_e32 v18, v19, v25
	v_fma_f32 v20, v25, v19, -v18
	v_fmac_f32_e32 v20, v25, v21
	v_add_f32_e32 v16, v18, v20
	v_sub_f32_e32 v19, v17, v16
	v_pk_add_f32 v[22:23], v[16:17], v[18:19] neg_lo:[0,1] neg_hi:[0,1]
	v_mov_b32_e32 v21, v16
	v_pk_add_f32 v[16:17], v[22:23], v[20:21] neg_lo:[0,1] neg_hi:[0,1]
	v_add_f32_e32 v16, v16, v17
	v_add_f32_e32 v16, v19, v16
	v_mul_f32_e32 v17, v24, v16
	v_add_f32_e32 v16, v25, v17
	v_sub_f32_e32 v18, v16, v25
	v_sub_f32_e32 v26, v17, v18
	v_mul_f32_e32 v17, v16, v16
	v_fma_f32 v19, v16, v16, -v17
	v_add_f32_e32 v18, v26, v26
	v_fmac_f32_e32 v19, v16, v18
	v_add_f32_e32 v18, v17, v19
	v_mov_b32_e32 v20, 0x3e91f4c4
	v_fmac_f32_e32 v20, 0x3e76c4e1, v18
	v_fma_f32 v20, v18, v20, v7
	v_sub_f32_e32 v17, v18, v17
	v_sub_f32_e32 v27, v19, v17
	v_mul_f32_e32 v17, v18, v20
	v_fma_f32 v19, v18, v20, -v17
	v_fmac_f32_e32 v19, v27, v20
	v_add_f32_e32 v20, v17, v19
	v_add_f32_e32 v21, 0x3f2aaaaa, v20
	v_sub_f32_e32 v17, v20, v17
	v_sub_f32_e32 v17, v19, v17
	v_add_f32_e32 v19, 0xbf2aaaaa, v21
	v_add_f32_e32 v17, 0x31739010, v17
	v_sub_f32_e32 v19, v20, v19
	v_pk_mul_f32 v[22:23], v[16:17], v[18:19]
	v_fma_f32 v20, v18, v16, -v22
	v_pk_add_f32 v[24:25], v[16:17], v[18:19]
	v_fmac_f32_e32 v20, v18, v26
	v_mov_b32_e32 v23, v25
	v_fmac_f32_e32 v20, v27, v16
	v_pk_add_f32 v[18:19], v[22:23], v[20:21]
	v_sub_f32_e32 v17, v18, v22
	v_sub_f32_e32 v17, v20, v17
	;; [unrolled: 1-line block ×3, first 2 shown]
	v_add_f32_e32 v24, v25, v20
	v_mov_b32_e32 v20, v19
	v_pk_mul_f32 v[20:21], v[18:19], v[20:21]
	v_cvt_f64_f32_e64 v[22:23], |v32|
	v_frexp_exp_i32_f64_e32 v21, v[22:23]
	v_subbrev_co_u32_e32 v21, vcc, 0, v21, vcc
	v_cvt_f32_i32_e32 v21, v21
	v_fma_f32 v22, v18, v19, -v20
	v_fmac_f32_e32 v22, v18, v24
	v_fmac_f32_e32 v22, v17, v19
	v_mul_f32_e32 v18, 0x3f317218, v21
	v_fma_f32 v24, v21, s16, -v18
	v_fmac_f32_e32 v24, 0xb102e308, v21
	v_ldexp_f32 v25, v16, 1
	v_add_f32_e32 v19, v20, v22
	v_pk_add_f32 v[16:17], v[18:19], v[24:25]
	v_ldexp_f32 v28, v26, 1
	v_mov_b32_e32 v26, v19
	v_mov_b32_e32 v27, v17
	;; [unrolled: 1-line block ×3, first 2 shown]
	v_pk_add_f32 v[20:21], v[26:27], v[20:21] neg_lo:[0,1] neg_hi:[0,1]
	v_mov_b32_e32 v23, v19
	v_pk_add_f32 v[20:21], v[22:23], v[20:21] neg_lo:[0,1] neg_hi:[0,1]
	v_add_f32_e32 v19, v28, v20
	v_add_f32_e32 v19, v19, v21
	v_pk_add_f32 v[20:21], v[16:17], v[18:19] neg_lo:[0,1] neg_hi:[0,1]
	v_pk_add_f32 v[22:23], v[16:17], v[18:19]
	v_mov_b32_e32 v26, v20
	v_mov_b32_e32 v27, v23
	;; [unrolled: 1-line block ×3, first 2 shown]
	v_pk_add_f32 v[26:27], v[24:25], v[26:27]
	v_mov_b32_e32 v18, v27
	v_pk_add_f32 v[28:29], v[18:19], v[16:17] neg_lo:[0,1] neg_hi:[0,1]
	v_mov_b32_e32 v29, v28
	v_mov_b32_e32 v26, v23
	v_mov_b32_e32 v16, v17
	v_mov_b32_e32 v17, v28
	v_pk_add_f32 v[20:21], v[24:25], v[20:21] neg_lo:[0,1] neg_hi:[0,1]
	v_pk_add_f32 v[30:31], v[22:23], v[28:29] neg_lo:[0,1] neg_hi:[0,1]
	;; [unrolled: 1-line block ×3, first 2 shown]
	v_mov_b32_e32 v24, v19
	v_pk_add_f32 v[16:17], v[24:25], v[16:17] neg_lo:[0,1] neg_hi:[0,1]
	v_mov_b32_e32 v30, v20
	v_pk_add_f32 v[22:23], v[30:31], v[16:17]
	v_mov_b32_e32 v24, v23
	v_pk_add_f32 v[24:25], v[22:23], v[24:25]
	v_pk_add_f32 v[18:19], v[18:19], v[24:25]
	v_mov_b32_e32 v21, v27
	v_mov_b32_e32 v23, v18
	v_pk_add_f32 v[26:27], v[22:23], v[20:21] neg_lo:[0,1] neg_hi:[0,1]
	v_mov_b32_e32 v17, v24
	v_sub_f32_e32 v19, v22, v26
	v_pk_add_f32 v[16:17], v[16:17], v[26:27] neg_lo:[0,1] neg_hi:[0,1]
	v_sub_f32_e32 v19, v20, v19
	v_add_f32_e32 v16, v16, v19
	v_add_f32_e32 v16, v16, v17
	;; [unrolled: 1-line block ×3, first 2 shown]
	v_sub_f32_e32 v18, v17, v18
	v_sub_f32_e32 v16, v16, v18
	v_mul_f32_e32 v18, v33, v17
	v_fma_f32 v17, v33, v17, -v18
	v_fmac_f32_e32 v17, v33, v16
	v_add_f32_e32 v16, v18, v17
	v_cmp_class_f32_e64 vcc, v18, s17
	v_sub_f32_e32 v19, v16, v18
	v_cndmask_b32_e32 v16, v16, v18, vcc
	v_cmp_eq_f32_e32 vcc, s19, v16
	v_cndmask_b32_e32 v18, 0, v8, vcc
	v_sub_f32_e32 v17, v17, v19
	v_sub_f32_e32 v19, v16, v18
	v_mul_f32_e32 v20, 0x3fb8aa3b, v19
	v_fma_f32 v21, v19, s20, -v20
	v_rndne_f32_e32 v22, v20
	v_fmac_f32_e32 v21, 0x32a5705f, v19
	v_sub_f32_e32 v20, v20, v22
	v_add_f32_e32 v20, v20, v21
	v_exp_f32_e32 v20, v20
	v_cvt_i32_f32_e32 v21, v22
	v_cmp_neq_f32_e64 vcc, |v16|, s18
	v_cndmask_b32_e32 v16, 0, v17, vcc
	v_cmp_ngt_f32_e32 vcc, s21, v19
	v_ldexp_f32 v17, v20, v21
	v_cndmask_b32_e32 v17, 0, v17, vcc
	v_cmp_nlt_f32_e32 vcc, s19, v19
	v_add_f32_e32 v16, v18, v16
	v_cndmask_b32_e32 v17, v9, v17, vcc
	v_fma_f32 v16, v17, v16, v17
	v_cmp_class_f32_e64 vcc, v17, s17
	v_cndmask_b32_e32 v16, v16, v17, vcc
	v_trunc_f32_e32 v17, v33
	v_cmp_eq_f32_e32 vcc, v17, v33
	v_mul_f32_e32 v17, 0.5, v33
	v_trunc_f32_e32 v18, v17
	v_cmp_neq_f32_e64 s[4:5], v18, v17
	s_and_b64 s[4:5], vcc, s[4:5]
	v_cndmask_b32_e64 v17, 1.0, v32, s[4:5]
	v_bfi_b32 v16, s22, v16, v17
	v_cndmask_b32_e32 v17, v6, v16, vcc
	v_cmp_gt_f32_e32 vcc, 0, v32
	v_cndmask_b32_e32 v16, v16, v17, vcc
	v_cmp_eq_f32_e32 vcc, 0, v32
	v_cmp_class_f32_e64 s[6:7], v32, s17
	v_cndmask_b32_e64 v17, v9, 0, vcc
	v_cndmask_b32_e64 v18, 0, v32, s[4:5]
	v_bfi_b32 v17, s22, v17, v18
	s_or_b64 vcc, vcc, s[6:7]
	v_cndmask_b32_e32 v16, v16, v17, vcc
	v_cmp_o_f32_e32 vcc, v32, v32
	v_cndmask_b32_e32 v30, v6, v16, vcc
	v_mul_f32_e32 v16, v15, v15
	v_mov_b32_e32 v17, 0x3c0881c4
	v_fmac_f32_e32 v17, 0xb94c1982, v16
	v_fma_f32 v17, v16, v17, v3
	v_mul_f32_e32 v17, v16, v17
	v_fmac_f32_e32 v15, v15, v17
	v_mov_b32_e32 v17, 0xbab64f3b
	v_fmac_f32_e32 v17, 0x37d75334, v16
	v_fma_f32 v17, v16, v17, v4
	v_fma_f32 v17, v16, v17, v5
	v_fma_f32 v16, v16, v17, 1.0
	v_and_b32_e32 v17, 1, v0
	v_lshlrev_b32_e32 v0, 30, v0
	v_cmp_eq_u32_e32 vcc, 0, v17
	v_and_b32_e32 v0, 0x80000000, v0
	v_xor_b32_e32 v14, v14, v13
	v_cndmask_b32_e32 v15, v16, v15, vcc
	v_xor_b32_e32 v0, v14, v0
	v_xor_b32_e32 v0, v0, v15
	v_cmp_class_f32_e64 vcc, v13, s36
	v_cndmask_b32_e64 v33, v6, |v0|, vcc
	v_cndmask_b32_e32 v31, v6, v0, vcc
	v_frexp_mant_f32_e32 v0, v33
	v_cmp_gt_f32_e32 vcc, s13, v0
	v_cndmask_b32_e64 v13, 1.0, 2.0, vcc
	v_mul_f32_e32 v0, v0, v13
	v_add_f32_e32 v13, 1.0, v0
	v_rcp_f32_e32 v22, v13
	v_add_f32_e32 v14, -1.0, v13
	v_add_f32_e32 v15, -1.0, v0
	v_sub_f32_e32 v14, v0, v14
	v_mul_f32_e32 v0, v15, v22
	v_mul_f32_e32 v16, v13, v0
	v_fma_f32 v18, v0, v13, -v16
	v_fmac_f32_e32 v18, v0, v14
	v_add_f32_e32 v14, v16, v18
	v_sub_f32_e32 v17, v15, v14
	v_pk_add_f32 v[20:21], v[14:15], v[16:17] neg_lo:[0,1] neg_hi:[0,1]
	v_mov_b32_e32 v19, v14
	v_pk_add_f32 v[14:15], v[20:21], v[18:19] neg_lo:[0,1] neg_hi:[0,1]
	v_add_f32_e32 v13, v14, v15
	v_add_f32_e32 v13, v17, v13
	v_mul_f32_e32 v13, v22, v13
	v_add_f32_e32 v14, v0, v13
	v_sub_f32_e32 v0, v14, v0
	v_sub_f32_e32 v13, v13, v0
	v_mul_f32_e32 v0, v14, v14
	v_fma_f32 v15, v14, v14, -v0
	v_add_f32_e32 v16, v13, v13
	v_fmac_f32_e32 v15, v14, v16
	v_add_f32_e32 v16, v0, v15
	v_mov_b32_e32 v17, 0x3e91f4c4
	v_fmac_f32_e32 v17, 0x3e76c4e1, v16
	v_fma_f32 v17, v16, v17, v7
	v_sub_f32_e32 v0, v16, v0
	v_sub_f32_e32 v0, v15, v0
	v_mul_f32_e32 v15, v16, v17
	v_fma_f32 v18, v16, v17, -v15
	v_fmac_f32_e32 v18, v0, v17
	v_add_f32_e32 v17, v15, v18
	v_add_f32_e32 v19, 0x3f2aaaaa, v17
	v_sub_f32_e32 v15, v17, v15
	v_sub_f32_e32 v15, v18, v15
	v_add_f32_e32 v18, 0xbf2aaaaa, v19
	v_add_f32_e32 v15, 0x31739010, v15
	v_sub_f32_e32 v17, v17, v18
	v_pk_mul_f32 v[20:21], v[14:15], v[16:17]
	v_fma_f32 v18, v16, v14, -v20
	v_pk_add_f32 v[22:23], v[14:15], v[16:17]
	v_fmac_f32_e32 v18, v16, v13
	v_mov_b32_e32 v21, v23
	v_fmac_f32_e32 v18, v0, v14
	v_pk_add_f32 v[16:17], v[20:21], v[18:19]
	v_sub_f32_e32 v0, v16, v20
	v_sub_f32_e32 v15, v18, v0
	;; [unrolled: 1-line block ×3, first 2 shown]
	v_add_f32_e32 v22, v23, v0
	v_mov_b32_e32 v0, v17
	v_cvt_f64_f32_e32 v[20:21], v33
	v_pk_mul_f32 v[18:19], v[16:17], v[0:1]
	v_frexp_exp_i32_f64_e32 v0, v[20:21]
	v_subbrev_co_u32_e32 v0, vcc, 0, v0, vcc
	v_cvt_f32_i32_e32 v0, v0
	v_fma_f32 v20, v16, v17, -v18
	v_fmac_f32_e32 v20, v16, v22
	v_fmac_f32_e32 v20, v15, v17
	v_mul_f32_e32 v16, 0x3f317218, v0
	v_fma_f32 v22, v0, s16, -v16
	v_fmac_f32_e32 v22, 0xb102e308, v0
	v_ldexp_f32 v23, v14, 1
	v_add_f32_e32 v17, v18, v20
	v_pk_add_f32 v[14:15], v[16:17], v[22:23]
	v_mov_b32_e32 v24, v17
	v_mov_b32_e32 v25, v15
	;; [unrolled: 1-line block ×3, first 2 shown]
	v_pk_add_f32 v[18:19], v[24:25], v[18:19] neg_lo:[0,1] neg_hi:[0,1]
	v_mov_b32_e32 v21, v17
	v_ldexp_f32 v0, v13, 1
	v_pk_add_f32 v[18:19], v[20:21], v[18:19] neg_lo:[0,1] neg_hi:[0,1]
	v_add_f32_e32 v0, v0, v18
	v_add_f32_e32 v17, v0, v19
	v_pk_add_f32 v[18:19], v[14:15], v[16:17] neg_lo:[0,1] neg_hi:[0,1]
	v_pk_add_f32 v[20:21], v[14:15], v[16:17]
	v_mov_b32_e32 v24, v18
	v_mov_b32_e32 v25, v21
	;; [unrolled: 1-line block ×3, first 2 shown]
	v_pk_add_f32 v[24:25], v[22:23], v[24:25]
	v_mov_b32_e32 v0, v25
	v_pk_add_f32 v[26:27], v[0:1], v[14:15] neg_lo:[0,1] neg_hi:[0,1]
	v_mov_b32_e32 v13, v26
	v_mov_b32_e32 v24, v21
	;; [unrolled: 1-line block ×4, first 2 shown]
	v_pk_add_f32 v[18:19], v[22:23], v[18:19] neg_lo:[0,1] neg_hi:[0,1]
	v_pk_add_f32 v[28:29], v[20:21], v[12:13] neg_lo:[0,1] neg_hi:[0,1]
	;; [unrolled: 1-line block ×3, first 2 shown]
	v_mov_b32_e32 v22, v17
	v_pk_add_f32 v[14:15], v[22:23], v[14:15] neg_lo:[0,1] neg_hi:[0,1]
	v_mov_b32_e32 v28, v18
	v_pk_add_f32 v[16:17], v[28:29], v[14:15]
	v_mov_b32_e32 v20, v17
	v_pk_add_f32 v[20:21], v[16:17], v[20:21]
	v_pk_add_f32 v[22:23], v[0:1], v[20:21]
	v_mov_b32_e32 v19, v25
	v_mov_b32_e32 v17, v22
	v_pk_add_f32 v[24:25], v[16:17], v[18:19] neg_lo:[0,1] neg_hi:[0,1]
	v_mov_b32_e32 v15, v20
	v_sub_f32_e32 v0, v16, v24
	v_pk_add_f32 v[14:15], v[14:15], v[24:25] neg_lo:[0,1] neg_hi:[0,1]
	v_sub_f32_e32 v0, v18, v0
	v_add_f32_e32 v0, v14, v0
	v_add_f32_e32 v0, v0, v15
	v_cmp_eq_f32_e64 s[4:5], 1.0, v31
	v_add_f32_e32 v13, v22, v0
	v_cndmask_b32_e64 v32, 2.0, 1.0, s[4:5]
	v_sub_f32_e32 v14, v13, v22
	v_sub_f32_e32 v0, v0, v14
	v_mul_f32_e32 v14, v32, v13
	v_fma_f32 v13, v32, v13, -v14
	v_fmac_f32_e32 v13, v32, v0
	v_add_f32_e32 v0, v14, v13
	v_cmp_class_f32_e64 vcc, v14, s17
	v_sub_f32_e32 v15, v0, v14
	v_cndmask_b32_e32 v0, v0, v14, vcc
	v_cmp_eq_f32_e32 vcc, s19, v0
	v_cndmask_b32_e32 v14, 0, v8, vcc
	v_sub_f32_e32 v13, v13, v15
	v_sub_f32_e32 v15, v0, v14
	v_mul_f32_e32 v16, 0x3fb8aa3b, v15
	v_fma_f32 v17, v15, s20, -v16
	v_rndne_f32_e32 v18, v16
	v_fmac_f32_e32 v17, 0x32a5705f, v15
	v_sub_f32_e32 v16, v16, v18
	v_add_f32_e32 v16, v16, v17
	v_exp_f32_e32 v16, v16
	v_cvt_i32_f32_e32 v17, v18
	v_cmp_neq_f32_e64 vcc, |v0|, s18
	v_cndmask_b32_e32 v0, 0, v13, vcc
	v_cmp_ngt_f32_e32 vcc, s21, v15
	v_ldexp_f32 v13, v16, v17
	v_cndmask_b32_e32 v13, 0, v13, vcc
	v_cmp_nlt_f32_e32 vcc, s19, v15
	v_add_f32_e32 v0, v14, v0
	v_cndmask_b32_e32 v13, v9, v13, vcc
	v_fma_f32 v0, v13, v0, v13
	v_cmp_class_f32_e64 vcc, v13, s17
	v_cndmask_b32_e32 v0, v0, v13, vcc
	v_trunc_f32_e32 v13, v32
	v_cmp_eq_f32_e32 vcc, v13, v32
	v_mul_f32_e32 v13, 0.5, v32
	v_trunc_f32_e32 v14, v13
	v_cmp_neq_f32_e64 s[4:5], v14, v13
	s_and_b64 s[4:5], vcc, s[4:5]
	v_cndmask_b32_e64 v13, 1.0, v31, s[4:5]
	v_bfi_b32 v0, s22, v0, v13
	v_cndmask_b32_e32 v13, v6, v0, vcc
	v_cmp_gt_f32_e32 vcc, 0, v31
	v_cmp_eq_f32_e64 s[6:7], 0, v31
	v_cndmask_b32_e32 v0, v0, v13, vcc
	v_cmp_eq_f32_e32 vcc, s18, v33
	v_cndmask_b32_e64 v13, v9, 0, s[6:7]
	v_cndmask_b32_e64 v14, 0, v31, s[4:5]
	v_bfi_b32 v13, s22, v13, v14
	s_or_b64 vcc, s[6:7], vcc
	v_cndmask_b32_e32 v0, v0, v13, vcc
	v_fma_f32 v0, v0, s37, 1.0
	v_cmp_o_f32_e32 vcc, v31, v31
	v_cndmask_b32_e32 v0, v6, v0, vcc
	s_add_i32 s12, s12, 4
	s_cmpk_lg_i32 s12, 0x74
	v_fmac_f32_e32 v2, v30, v0
	s_cbranch_scc0 .LBB1_32
.LBB1_28:                               ; =>This Inner Loop Header: Depth=1
	v_add_u32_e32 v0, s12, v10
	buffer_load_dword v13, v0, s[0:3], 0 offen offset:4
	buffer_load_dword v16, v0, s[0:3], 0 offen
                                        ; implicit-def: $vgpr15
	s_waitcnt vmcnt(1)
	v_add_f32_e32 v0, -1.0, v13
	v_fma_f32 v0, v0, s23, 1.0
	v_mul_f32_e32 v13, 0x40490e56, v0
	v_and_b32_e32 v14, 0x7fffffff, v13
	v_cmp_nlt_f32_e64 s[4:5], |v13|, s24
                                        ; implicit-def: $vgpr0
	s_and_saveexec_b64 s[6:7], s[4:5]
	s_xor_b64 s[10:11], exec, s[6:7]
	s_cbranch_execz .LBB1_30
; %bb.29:                               ;   in Loop: Header=BB1_28 Depth=1
	v_lshrrev_b32_e32 v0, 23, v14
	v_add_u32_e32 v0, 0xffffff88, v0
	v_cmp_lt_u32_e32 vcc, 63, v0
	v_cndmask_b32_e32 v15, 0, v11, vcc
	v_add_u32_e32 v0, v15, v0
	v_cmp_lt_u32_e64 s[4:5], 31, v0
	v_cndmask_b32_e64 v15, 0, v12, s[4:5]
	v_add_u32_e32 v0, v15, v0
	v_cmp_lt_u32_e64 s[6:7], 31, v0
	v_cndmask_b32_e64 v15, 0, v12, s[6:7]
	v_add_u32_e32 v15, v15, v0
	v_and_b32_e32 v0, 0x7fffff, v14
	v_or_b32_e32 v17, 0x800000, v0
	v_mad_u64_u32 v[18:19], s[8:9], v17, s25, 0
	v_mov_b32_e32 v0, v19
	v_mad_u64_u32 v[20:21], s[8:9], v17, s26, v[0:1]
	v_mov_b32_e32 v0, v21
	;; [unrolled: 2-line block ×6, first 2 shown]
	v_mad_u64_u32 v[30:31], s[8:9], v17, s31, v[0:1]
	v_cndmask_b32_e32 v19, v28, v24, vcc
	v_cndmask_b32_e32 v0, v30, v26, vcc
	;; [unrolled: 1-line block ×3, first 2 shown]
	v_cndmask_b32_e64 v17, v0, v19, s[4:5]
	v_cndmask_b32_e64 v0, v21, v0, s[4:5]
	v_cndmask_b32_e32 v21, v26, v22, vcc
	v_cndmask_b32_e64 v19, v19, v21, s[4:5]
	v_sub_u32_e32 v23, 32, v15
	v_cmp_eq_u32_e64 s[8:9], 0, v15
	v_cndmask_b32_e32 v15, v24, v20, vcc
	v_cndmask_b32_e64 v0, v0, v17, s[6:7]
	v_cndmask_b32_e64 v17, v17, v19, s[6:7]
	;; [unrolled: 1-line block ×3, first 2 shown]
	v_alignbit_b32 v25, v0, v17, v23
	v_cndmask_b32_e64 v19, v19, v20, s[6:7]
	v_cndmask_b32_e64 v0, v25, v0, s[8:9]
	v_alignbit_b32 v21, v17, v19, v23
	v_cndmask_b32_e32 v18, v22, v18, vcc
	v_cndmask_b32_e64 v17, v21, v17, s[8:9]
	v_bfe_u32 v25, v0, 29, 1
	v_cndmask_b32_e64 v15, v15, v18, s[4:5]
	v_alignbit_b32 v21, v0, v17, 30
	v_sub_u32_e32 v26, 0, v25
	v_cndmask_b32_e64 v15, v20, v15, s[6:7]
	v_xor_b32_e32 v27, v21, v26
	v_alignbit_b32 v18, v19, v15, v23
	v_cndmask_b32_e64 v18, v18, v19, s[8:9]
	v_ffbh_u32_e32 v19, v27
	v_add_u32_e32 v19, 1, v19
	v_cmp_ne_u32_e32 vcc, v21, v26
	v_alignbit_b32 v17, v17, v18, 30
	v_cndmask_b32_e32 v19, 33, v19, vcc
	v_alignbit_b32 v15, v18, v15, 30
	v_xor_b32_e32 v17, v17, v26
	v_sub_u32_e32 v20, 32, v19
	v_xor_b32_e32 v15, v15, v26
	v_alignbit_b32 v21, v27, v17, v20
	v_alignbit_b32 v15, v17, v15, v20
	;; [unrolled: 1-line block ×3, first 2 shown]
	v_ffbh_u32_e32 v18, v17
	v_min_u32_e32 v18, 32, v18
	v_lshrrev_b32_e32 v24, 29, v0
	v_sub_u32_e32 v20, 31, v18
	v_alignbit_b32 v15, v17, v15, v20
	v_lshlrev_b32_e32 v17, 31, v24
	v_or_b32_e32 v20, 0x33800000, v17
	v_add_lshl_u32 v18, v18, v19, 23
	v_lshrrev_b32_e32 v15, 9, v15
	v_sub_u32_e32 v18, v20, v18
	v_or_b32_e32 v15, v18, v15
	v_alignbit_b32 v18, v19, v21, 9
	v_or_b32_e32 v17, v18, v17
	v_xor_b32_e32 v17, 1.0, v17
	v_mul_f32_e32 v18, 0x3fc90fda, v17
	v_fma_f32 v19, v17, s33, -v18
	v_fmac_f32_e32 v19, 0x33a22168, v17
	v_fmac_f32_e32 v19, 0x3fc90fda, v15
	v_lshrrev_b32_e32 v0, 30, v0
	v_add_f32_e32 v15, v18, v19
	v_add_u32_e32 v0, v25, v0
.LBB1_30:                               ;   in Loop: Header=BB1_28 Depth=1
	s_andn2_saveexec_b64 s[4:5], s[10:11]
	s_cbranch_execz .LBB1_27
; %bb.31:                               ;   in Loop: Header=BB1_28 Depth=1
	v_mul_f32_e64 v0, |v13|, s34
	v_rndne_f32_e32 v17, v0
	v_cvt_i32_f32_e32 v0, v17
	v_fma_f32 v15, v17, s35, |v13|
	v_fmac_f32_e32 v15, 0xb3a22168, v17
	v_fmac_f32_e32 v15, 0xa7c234c4, v17
	s_branch .LBB1_27
.LBB1_32:
	s_mov_b32 s4, 0x43020000
	v_cmp_gt_f32_e32 vcc, s4, v2
	s_and_b64 exec, exec, vcc
	s_cbranch_execz .LBB1_212
; %bb.33:
	buffer_load_dword v0, off, s[0:3], 0
	s_mov_b64 s[4:5], exec
	v_bfrev_b32_e32 v2, 1
.LBB1_34:                               ; =>This Inner Loop Header: Depth=1
	s_ff1_i32_b64 s6, s[4:5]
	s_waitcnt vmcnt(0)
	v_readlane_b32 s8, v0, s6
	s_lshl_b64 s[6:7], 1, s6
	s_andn2_b64 s[4:5], s[4:5], s[6:7]
	s_cmp_lg_u64 s[4:5], 0
	v_add_f32_e32 v2, s8, v2
	s_cbranch_scc1 .LBB1_34
; %bb.35:
	v_mbcnt_lo_u32_b32 v0, exec_lo, 0
	v_mbcnt_hi_u32_b32 v0, exec_hi, v0
	v_cmp_eq_u32_e32 vcc, 0, v0
	s_and_saveexec_b64 s[4:5], vcc
	s_xor_b64 s[4:5], exec, s[4:5]
	s_cbranch_execz .LBB1_39
; %bb.36:
	s_waitcnt lgkmcnt(0)
	s_load_dword s8, s[14:15], 0x0
	s_mov_b64 s[6:7], 0
	v_mov_b32_e32 v3, 0
	s_waitcnt lgkmcnt(0)
	v_mov_b32_e32 v1, s8
.LBB1_37:                               ; =>This Inner Loop Header: Depth=1
	v_add_f32_e32 v0, v1, v2
	global_atomic_cmpswap v0, v3, v[0:1], s[14:15] glc
	s_waitcnt vmcnt(0)
	v_cmp_eq_u32_e32 vcc, v0, v1
	s_or_b64 s[6:7], vcc, s[6:7]
	v_mov_b32_e32 v1, v0
	s_andn2_b64 exec, exec, s[6:7]
	s_cbranch_execnz .LBB1_37
; %bb.38:
	s_or_b64 exec, exec, s[6:7]
.LBB1_39:
	s_or_b64 exec, exec, s[4:5]
	buffer_load_dword v0, off, s[0:3], 0 offset:4
	s_mov_b64 s[4:5], exec
	v_bfrev_b32_e32 v2, 1
.LBB1_40:                               ; =>This Inner Loop Header: Depth=1
	s_ff1_i32_b64 s6, s[4:5]
	s_waitcnt vmcnt(0)
	v_readlane_b32 s8, v0, s6
	s_lshl_b64 s[6:7], 1, s6
	s_andn2_b64 s[4:5], s[4:5], s[6:7]
	s_cmp_lg_u64 s[4:5], 0
	v_add_f32_e32 v2, s8, v2
	s_cbranch_scc1 .LBB1_40
; %bb.41:
	v_mbcnt_lo_u32_b32 v0, exec_lo, 0
	v_mbcnt_hi_u32_b32 v0, exec_hi, v0
	v_cmp_eq_u32_e32 vcc, 0, v0
	s_and_saveexec_b64 s[4:5], vcc
	s_xor_b64 s[4:5], exec, s[4:5]
	s_cbranch_execz .LBB1_45
; %bb.42:
	s_waitcnt lgkmcnt(0)
	s_load_dword s8, s[14:15], 0x4
	s_mov_b64 s[6:7], 0
	v_mov_b32_e32 v3, 0
	s_waitcnt lgkmcnt(0)
	v_mov_b32_e32 v1, s8
.LBB1_43:                               ; =>This Inner Loop Header: Depth=1
	v_add_f32_e32 v0, v1, v2
	global_atomic_cmpswap v0, v3, v[0:1], s[14:15] offset:4 glc
	s_waitcnt vmcnt(0)
	v_cmp_eq_u32_e32 vcc, v0, v1
	s_or_b64 s[6:7], vcc, s[6:7]
	v_mov_b32_e32 v1, v0
	s_andn2_b64 exec, exec, s[6:7]
	s_cbranch_execnz .LBB1_43
; %bb.44:
	s_or_b64 exec, exec, s[6:7]
.LBB1_45:
	s_or_b64 exec, exec, s[4:5]
	buffer_load_dword v0, off, s[0:3], 0 offset:8
	s_mov_b64 s[4:5], exec
	v_bfrev_b32_e32 v2, 1
.LBB1_46:                               ; =>This Inner Loop Header: Depth=1
	s_ff1_i32_b64 s6, s[4:5]
	s_waitcnt vmcnt(0)
	v_readlane_b32 s8, v0, s6
	s_lshl_b64 s[6:7], 1, s6
	s_andn2_b64 s[4:5], s[4:5], s[6:7]
	s_cmp_lg_u64 s[4:5], 0
	v_add_f32_e32 v2, s8, v2
	s_cbranch_scc1 .LBB1_46
; %bb.47:
	v_mbcnt_lo_u32_b32 v0, exec_lo, 0
	v_mbcnt_hi_u32_b32 v0, exec_hi, v0
	v_cmp_eq_u32_e32 vcc, 0, v0
	s_and_saveexec_b64 s[4:5], vcc
	s_xor_b64 s[4:5], exec, s[4:5]
	s_cbranch_execz .LBB1_51
; %bb.48:
	s_waitcnt lgkmcnt(0)
	s_load_dword s8, s[14:15], 0x8
	s_mov_b64 s[6:7], 0
	v_mov_b32_e32 v3, 0
	s_waitcnt lgkmcnt(0)
	v_mov_b32_e32 v1, s8
.LBB1_49:                               ; =>This Inner Loop Header: Depth=1
	v_add_f32_e32 v0, v1, v2
	global_atomic_cmpswap v0, v3, v[0:1], s[14:15] offset:8 glc
	s_waitcnt vmcnt(0)
	v_cmp_eq_u32_e32 vcc, v0, v1
	s_or_b64 s[6:7], vcc, s[6:7]
	v_mov_b32_e32 v1, v0
	s_andn2_b64 exec, exec, s[6:7]
	s_cbranch_execnz .LBB1_49
; %bb.50:
	s_or_b64 exec, exec, s[6:7]
.LBB1_51:
	;; [unrolled: 39-line block ×10, first 2 shown]
	s_or_b64 exec, exec, s[4:5]
	buffer_load_dword v0, off, s[0:3], 0 offset:44
	s_mov_b64 s[4:5], exec
	v_bfrev_b32_e32 v2, 1
.LBB1_100:                              ; =>This Inner Loop Header: Depth=1
	s_ff1_i32_b64 s6, s[4:5]
	s_waitcnt vmcnt(0)
	v_readlane_b32 s8, v0, s6
	s_lshl_b64 s[6:7], 1, s6
	s_andn2_b64 s[4:5], s[4:5], s[6:7]
	s_cmp_lg_u64 s[4:5], 0
	v_add_f32_e32 v2, s8, v2
	s_cbranch_scc1 .LBB1_100
; %bb.101:
	v_mbcnt_lo_u32_b32 v0, exec_lo, 0
	v_mbcnt_hi_u32_b32 v0, exec_hi, v0
	v_cmp_eq_u32_e32 vcc, 0, v0
	s_and_saveexec_b64 s[4:5], vcc
	s_xor_b64 s[4:5], exec, s[4:5]
	s_cbranch_execz .LBB1_105
; %bb.102:
	s_waitcnt lgkmcnt(0)
	s_load_dword s8, s[14:15], 0x2c
	s_mov_b64 s[6:7], 0
	v_mov_b32_e32 v3, 0
	s_waitcnt lgkmcnt(0)
	v_mov_b32_e32 v1, s8
.LBB1_103:                              ; =>This Inner Loop Header: Depth=1
	v_add_f32_e32 v0, v1, v2
	global_atomic_cmpswap v0, v3, v[0:1], s[14:15] offset:44 glc
	s_waitcnt vmcnt(0)
	v_cmp_eq_u32_e32 vcc, v0, v1
	s_or_b64 s[6:7], vcc, s[6:7]
	v_mov_b32_e32 v1, v0
	s_andn2_b64 exec, exec, s[6:7]
	s_cbranch_execnz .LBB1_103
; %bb.104:
	s_or_b64 exec, exec, s[6:7]
.LBB1_105:
	s_or_b64 exec, exec, s[4:5]
	buffer_load_dword v0, off, s[0:3], 0 offset:48
	s_mov_b64 s[4:5], exec
	v_bfrev_b32_e32 v2, 1
.LBB1_106:                              ; =>This Inner Loop Header: Depth=1
	s_ff1_i32_b64 s6, s[4:5]
	s_waitcnt vmcnt(0)
	v_readlane_b32 s8, v0, s6
	s_lshl_b64 s[6:7], 1, s6
	s_andn2_b64 s[4:5], s[4:5], s[6:7]
	s_cmp_lg_u64 s[4:5], 0
	v_add_f32_e32 v2, s8, v2
	s_cbranch_scc1 .LBB1_106
; %bb.107:
	v_mbcnt_lo_u32_b32 v0, exec_lo, 0
	v_mbcnt_hi_u32_b32 v0, exec_hi, v0
	v_cmp_eq_u32_e32 vcc, 0, v0
	s_and_saveexec_b64 s[4:5], vcc
	s_xor_b64 s[4:5], exec, s[4:5]
	s_cbranch_execz .LBB1_111
; %bb.108:
	s_waitcnt lgkmcnt(0)
	s_load_dword s8, s[14:15], 0x30
	s_mov_b64 s[6:7], 0
	v_mov_b32_e32 v3, 0
	s_waitcnt lgkmcnt(0)
	v_mov_b32_e32 v1, s8
.LBB1_109:                              ; =>This Inner Loop Header: Depth=1
	v_add_f32_e32 v0, v1, v2
	global_atomic_cmpswap v0, v3, v[0:1], s[14:15] offset:48 glc
	s_waitcnt vmcnt(0)
	v_cmp_eq_u32_e32 vcc, v0, v1
	s_or_b64 s[6:7], vcc, s[6:7]
	v_mov_b32_e32 v1, v0
	s_andn2_b64 exec, exec, s[6:7]
	s_cbranch_execnz .LBB1_109
; %bb.110:
	s_or_b64 exec, exec, s[6:7]
.LBB1_111:
	;; [unrolled: 39-line block ×18, first 2 shown]
	s_or_b64 exec, exec, s[4:5]
	buffer_load_dword v0, off, s[0:3], 0 offset:116
	s_mov_b64 s[4:5], exec
	v_bfrev_b32_e32 v2, 1
.LBB1_208:                              ; =>This Inner Loop Header: Depth=1
	s_ff1_i32_b64 s6, s[4:5]
	s_waitcnt vmcnt(0)
	v_readlane_b32 s8, v0, s6
	s_lshl_b64 s[6:7], 1, s6
	s_andn2_b64 s[4:5], s[4:5], s[6:7]
	s_cmp_lg_u64 s[4:5], 0
	v_add_f32_e32 v2, s8, v2
	s_cbranch_scc1 .LBB1_208
; %bb.209:
	v_mbcnt_lo_u32_b32 v0, exec_lo, 0
	v_mbcnt_hi_u32_b32 v0, exec_hi, v0
	v_cmp_eq_u32_e32 vcc, 0, v0
	s_and_saveexec_b64 s[4:5], vcc
	s_xor_b64 s[4:5], exec, s[4:5]
	s_cbranch_execz .LBB1_212
; %bb.210:
	s_waitcnt lgkmcnt(0)
	s_load_dword s6, s[14:15], 0x74
	s_mov_b64 s[4:5], 0
	v_mov_b32_e32 v3, 0
	s_waitcnt lgkmcnt(0)
	v_mov_b32_e32 v1, s6
.LBB1_211:                              ; =>This Inner Loop Header: Depth=1
	v_add_f32_e32 v0, v1, v2
	global_atomic_cmpswap v0, v3, v[0:1], s[14:15] offset:116 glc
	s_waitcnt vmcnt(0)
	v_cmp_eq_u32_e32 vcc, v0, v1
	s_or_b64 s[4:5], vcc, s[4:5]
	v_mov_b32_e32 v1, v0
	s_andn2_b64 exec, exec, s[4:5]
	s_cbranch_execnz .LBB1_211
.LBB1_212:
	s_endpgm
	.section	.rodata,"a",@progbits
	.p2align	6, 0x0
	.amdhsa_kernel _Z17kernelUpdatePBestPKfPfS1_i
		.amdhsa_group_segment_fixed_size 0
		.amdhsa_private_segment_fixed_size 256
		.amdhsa_kernarg_size 288
		.amdhsa_user_sgpr_count 8
		.amdhsa_user_sgpr_private_segment_buffer 1
		.amdhsa_user_sgpr_dispatch_ptr 0
		.amdhsa_user_sgpr_queue_ptr 0
		.amdhsa_user_sgpr_kernarg_segment_ptr 1
		.amdhsa_user_sgpr_dispatch_id 0
		.amdhsa_user_sgpr_flat_scratch_init 1
		.amdhsa_user_sgpr_kernarg_preload_length 0
		.amdhsa_user_sgpr_kernarg_preload_offset 0
		.amdhsa_user_sgpr_private_segment_size 0
		.amdhsa_uses_dynamic_stack 0
		.amdhsa_system_sgpr_private_segment_wavefront_offset 1
		.amdhsa_system_sgpr_workgroup_id_x 1
		.amdhsa_system_sgpr_workgroup_id_y 0
		.amdhsa_system_sgpr_workgroup_id_z 0
		.amdhsa_system_sgpr_workgroup_info 0
		.amdhsa_system_vgpr_workitem_id 0
		.amdhsa_next_free_vgpr 62
		.amdhsa_next_free_sgpr 42
		.amdhsa_accum_offset 64
		.amdhsa_reserve_vcc 1
		.amdhsa_reserve_flat_scratch 0
		.amdhsa_float_round_mode_32 0
		.amdhsa_float_round_mode_16_64 0
		.amdhsa_float_denorm_mode_32 3
		.amdhsa_float_denorm_mode_16_64 3
		.amdhsa_dx10_clamp 1
		.amdhsa_ieee_mode 1
		.amdhsa_fp16_overflow 0
		.amdhsa_tg_split 0
		.amdhsa_exception_fp_ieee_invalid_op 0
		.amdhsa_exception_fp_denorm_src 0
		.amdhsa_exception_fp_ieee_div_zero 0
		.amdhsa_exception_fp_ieee_overflow 0
		.amdhsa_exception_fp_ieee_underflow 0
		.amdhsa_exception_fp_ieee_inexact 0
		.amdhsa_exception_int_div_zero 0
	.end_amdhsa_kernel
	.text
.Lfunc_end1:
	.size	_Z17kernelUpdatePBestPKfPfS1_i, .Lfunc_end1-_Z17kernelUpdatePBestPKfPfS1_i
                                        ; -- End function
	.section	.AMDGPU.csdata,"",@progbits
; Kernel info:
; codeLenInByte = 22168
; NumSgprs: 46
; NumVgprs: 62
; NumAgprs: 0
; TotalNumVgprs: 62
; ScratchSize: 256
; MemoryBound: 1
; FloatMode: 240
; IeeeMode: 1
; LDSByteSize: 0 bytes/workgroup (compile time only)
; SGPRBlocks: 5
; VGPRBlocks: 7
; NumSGPRsForWavesPerEU: 46
; NumVGPRsForWavesPerEU: 62
; AccumOffset: 64
; Occupancy: 8
; WaveLimiterHint : 0
; COMPUTE_PGM_RSRC2:SCRATCH_EN: 1
; COMPUTE_PGM_RSRC2:USER_SGPR: 8
; COMPUTE_PGM_RSRC2:TRAP_HANDLER: 0
; COMPUTE_PGM_RSRC2:TGID_X_EN: 1
; COMPUTE_PGM_RSRC2:TGID_Y_EN: 0
; COMPUTE_PGM_RSRC2:TGID_Z_EN: 0
; COMPUTE_PGM_RSRC2:TIDIG_COMP_CNT: 0
; COMPUTE_PGM_RSRC3_GFX90A:ACCUM_OFFSET: 15
; COMPUTE_PGM_RSRC3_GFX90A:TG_SPLIT: 0
	.text
	.p2alignl 6, 3212836864
	.fill 256, 4, 3212836864
	.type	__hip_cuid_fdcfd2c5e95bd568,@object ; @__hip_cuid_fdcfd2c5e95bd568
	.section	.bss,"aw",@nobits
	.globl	__hip_cuid_fdcfd2c5e95bd568
__hip_cuid_fdcfd2c5e95bd568:
	.byte	0                               ; 0x0
	.size	__hip_cuid_fdcfd2c5e95bd568, 1

	.ident	"AMD clang version 19.0.0git (https://github.com/RadeonOpenCompute/llvm-project roc-6.4.0 25133 c7fe45cf4b819c5991fe208aaa96edf142730f1d)"
	.section	".note.GNU-stack","",@progbits
	.addrsig
	.addrsig_sym __hip_cuid_fdcfd2c5e95bd568
	.amdgpu_metadata
---
amdhsa.kernels:
  - .agpr_count:     0
    .args:
      - .address_space:  global
        .offset:         0
        .size:           8
        .value_kind:     global_buffer
      - .address_space:  global
        .offset:         8
        .size:           8
        .value_kind:     global_buffer
      - .actual_access:  read_only
        .address_space:  global
        .offset:         16
        .size:           8
        .value_kind:     global_buffer
      - .actual_access:  read_only
        .address_space:  global
        .offset:         24
        .size:           8
        .value_kind:     global_buffer
      - .offset:         32
        .size:           4
        .value_kind:     by_value
      - .offset:         36
        .size:           4
        .value_kind:     by_value
      - .offset:         40
        .size:           4
        .value_kind:     by_value
      - .offset:         48
        .size:           4
        .value_kind:     hidden_block_count_x
      - .offset:         52
        .size:           4
        .value_kind:     hidden_block_count_y
      - .offset:         56
        .size:           4
        .value_kind:     hidden_block_count_z
      - .offset:         60
        .size:           2
        .value_kind:     hidden_group_size_x
      - .offset:         62
        .size:           2
        .value_kind:     hidden_group_size_y
      - .offset:         64
        .size:           2
        .value_kind:     hidden_group_size_z
      - .offset:         66
        .size:           2
        .value_kind:     hidden_remainder_x
      - .offset:         68
        .size:           2
        .value_kind:     hidden_remainder_y
      - .offset:         70
        .size:           2
        .value_kind:     hidden_remainder_z
      - .offset:         88
        .size:           8
        .value_kind:     hidden_global_offset_x
      - .offset:         96
        .size:           8
        .value_kind:     hidden_global_offset_y
      - .offset:         104
        .size:           8
        .value_kind:     hidden_global_offset_z
      - .offset:         112
        .size:           2
        .value_kind:     hidden_grid_dims
    .group_segment_fixed_size: 0
    .kernarg_segment_align: 8
    .kernarg_segment_size: 304
    .language:       OpenCL C
    .language_version:
      - 2
      - 0
    .max_flat_workgroup_size: 1024
    .name:           _Z20kernelUpdateParticlePfS_PKfS1_iff
    .private_segment_fixed_size: 0
    .sgpr_count:     16
    .sgpr_spill_count: 0
    .symbol:         _Z20kernelUpdateParticlePfS_PKfS1_iff.kd
    .uniform_work_group_size: 1
    .uses_dynamic_stack: false
    .vgpr_count:     10
    .vgpr_spill_count: 0
    .wavefront_size: 64
  - .agpr_count:     0
    .args:
      - .actual_access:  read_only
        .address_space:  global
        .offset:         0
        .size:           8
        .value_kind:     global_buffer
      - .address_space:  global
        .offset:         8
        .size:           8
        .value_kind:     global_buffer
      - .address_space:  global
        .offset:         16
        .size:           8
        .value_kind:     global_buffer
      - .offset:         24
        .size:           4
        .value_kind:     by_value
      - .offset:         32
        .size:           4
        .value_kind:     hidden_block_count_x
      - .offset:         36
        .size:           4
        .value_kind:     hidden_block_count_y
      - .offset:         40
        .size:           4
        .value_kind:     hidden_block_count_z
      - .offset:         44
        .size:           2
        .value_kind:     hidden_group_size_x
      - .offset:         46
        .size:           2
        .value_kind:     hidden_group_size_y
      - .offset:         48
        .size:           2
        .value_kind:     hidden_group_size_z
      - .offset:         50
        .size:           2
        .value_kind:     hidden_remainder_x
      - .offset:         52
        .size:           2
        .value_kind:     hidden_remainder_y
      - .offset:         54
        .size:           2
        .value_kind:     hidden_remainder_z
      - .offset:         72
        .size:           8
        .value_kind:     hidden_global_offset_x
      - .offset:         80
        .size:           8
        .value_kind:     hidden_global_offset_y
      - .offset:         88
        .size:           8
        .value_kind:     hidden_global_offset_z
      - .offset:         96
        .size:           2
        .value_kind:     hidden_grid_dims
    .group_segment_fixed_size: 0
    .kernarg_segment_align: 8
    .kernarg_segment_size: 288
    .language:       OpenCL C
    .language_version:
      - 2
      - 0
    .max_flat_workgroup_size: 1024
    .name:           _Z17kernelUpdatePBestPKfPfS1_i
    .private_segment_fixed_size: 256
    .sgpr_count:     46
    .sgpr_spill_count: 0
    .symbol:         _Z17kernelUpdatePBestPKfPfS1_i.kd
    .uniform_work_group_size: 1
    .uses_dynamic_stack: false
    .vgpr_count:     62
    .vgpr_spill_count: 0
    .wavefront_size: 64
amdhsa.target:   amdgcn-amd-amdhsa--gfx90a
amdhsa.version:
  - 1
  - 2
...

	.end_amdgpu_metadata
